;; amdgpu-corpus repo=ROCm/aiter kind=harvested arch=n/a opt=n/a

/root/src/amdgpu-assembly/repos/ROCm__aiter/hsa/gfx950/f4gemm/f4gemm_bf16_per1x32Fp4_BpreShuffle_96x128.co:	file format elf64-amdgpu

Disassembly of section .text:

0000000000002c00 <_ZN5aiter41f4gemm_bf16_per1x32Fp4_BpreShuffle_96x128E>:
	s_and_b32 s1, s1, 0xffff                                   // 000000002C00: 8601FF01 0000FFFF
	s_load_dwordx2 s[4:5], s[0:1], 0x0                         // 000000002C08: C0060100 00000000
	s_load_dwordx2 s[8:9], s[0:1], 0x10                        // 000000002C10: C0060200 00000010
	s_load_dwordx2 s[12:13], s[0:1], 0x20                      // 000000002C18: C0060300 00000020
	s_load_dwordx2 s[16:17], s[0:1], 0x30                      // 000000002C20: C0060400 00000030
	s_load_dword s41, s[0:1], 0x40                             // 000000002C28: C0020A40 00000040
	s_load_dword s42, s[0:1], 0x50                             // 000000002C30: C0020A80 00000050
	s_load_dword s36, s[0:1], 0x80                             // 000000002C38: C0020900 00000080
	s_load_dword s37, s[0:1], 0xa0                             // 000000002C40: C0020940 000000A0
	s_load_dword s38, s[0:1], 0xc0                             // 000000002C48: C0020980 000000C0
	s_load_dword s43, s[0:1], 0xe0                             // 000000002C50: C0020AC0 000000E0
	s_load_dword s44, s[0:1], 0xf0                             // 000000002C58: C0020B00 000000F0
	s_load_dword s45, s[0:1], 0x100                            // 000000002C60: C0020B40 00000100
	s_load_dwordx2 s[20:21], s[0:1], 0x110                     // 000000002C68: C0060500 00000110
	s_load_dwordx2 s[24:25], s[0:1], 0x120                     // 000000002C70: C0060600 00000120
	s_load_dword s39, s[0:1], 0x130                            // 000000002C78: C00209C0 00000130
	s_load_dword s40, s[0:1], 0x150                            // 000000002C80: C0020A00 00000150
	v_lshrrev_b32_e32 v1, 10, v0                               // 000000002C88: 2002008A
	v_lshrrev_b32_e32 v2, 10, v1                               // 000000002C8C: 2004028A
	v_and_b32_e32 v2, 0x3ff, v2                                // 000000002C90: 260404FF 000003FF
	v_and_b32_e32 v1, 0x3ff, v1                                // 000000002C98: 260202FF 000003FF
	v_and_b32_e32 v0, 0x3ff, v0                                // 000000002CA0: 260000FF 000003FF
	v_lshrrev_b32_e32 v3, 6, v0                                // 000000002CA8: 20060086
	v_and_b32_e32 v0, 63, v0                                   // 000000002CAC: 260000BF
	s_mov_b32 s47, s2                                          // 000000002CB0: BEAF0002
	s_mov_b32 s48, s3                                          // 000000002CB4: BEB00003
	v_readfirstlane_b32 s46, v3                                // 000000002CB8: 7E5C0503
	s_waitcnt lgkmcnt(0)                                       // 000000002CBC: BF8CC07F
	s_add_u32 s51, s44, 0x7f                                   // 000000002CC0: 8033FF2C 0000007F
	s_lshr_b32 s50, s51, 7                                     // 000000002CC8: 8F328733
	s_mul_i32 s49, s50, s48                                    // 000000002CCC: 92313032
	s_add_i32 s49, s49, s47                                    // 000000002CD0: 81312F31
	s_add_u32 s51, s43, 0x5f                                   // 000000002CD4: 8033FF2B 0000005F
	s_mov_b32 s63, 0x60                                        // 000000002CDC: BEBF00FF 00000060
	v_cvt_f32_u32_e32 v4, s63                                  // 000000002CE4: 7E080C3F
	s_sub_i32 s62, 0, s63                                      // 000000002CE8: 81BE3F80
	v_rcp_iflag_f32_e32 v4, v4                                 // 000000002CEC: 7E084704
	s_nop 0                                                    // 000000002CF0: BF800000
	v_mul_f32_e32 v4, 0x4f7ffffe, v4                           // 000000002CF4: 0A0808FF 4F7FFFFE
	v_cvt_u32_f32_e32 v4, v4                                   // 000000002CFC: 7E080F04
	v_mul_lo_u32 v5, s62, v4                                   // 000000002D00: D2850005 0002083E
	v_mul_hi_u32 v5, v4, v5                                    // 000000002D08: D2860005 00020B04
	v_add_u32_e32 v4, v4, v5                                   // 000000002D10: 68080B04
	v_mul_hi_u32 v4, s51, v4                                   // 000000002D14: D2860004 00020833
	v_mul_lo_u32 v5, v4, s63                                   // 000000002D1C: D2850005 00007F04
	v_sub_u32_e32 v7, s51, v5                                  // 000000002D24: 6A0E0A33
	v_add_u32_e32 v6, 1, v4                                    // 000000002D28: 680C0881
	v_cmp_le_u32_e32 vcc, s63, v7                              // 000000002D2C: 7D960E3F
	v_subrev_u32_e32 v5, s63, v7                               // 000000002D30: 6C0A0E3F
	s_nop 0                                                    // 000000002D34: BF800000
	v_cndmask_b32_e32 v4, v4, v6, vcc                          // 000000002D38: 00080D04
	v_cndmask_b32_e32 v7, v7, v5, vcc                          // 000000002D3C: 000E0B07
	v_add_u32_e32 v5, 1, v4                                    // 000000002D40: 680A0881
	v_cmp_le_u32_e32 vcc, s63, v7                              // 000000002D44: 7D960E3F
	s_nop 1                                                    // 000000002D48: BF800001
	v_cndmask_b32_e32 v7, v4, v5, vcc                          // 000000002D4C: 000E0B04
	s_nop 3                                                    // 000000002D50: BF800003
	v_readfirstlane_b32 s62, v7                                // 000000002D54: 7E7C0507
	s_nop 3                                                    // 000000002D58: BF800003
	s_lshl_b32 s62, s62, 5                                     // 000000002D5C: 8E3E853E
	s_mov_b32 s47, 0                                           // 000000002D60: BEAF0080

0000000000002d64 <label_0059>:
	s_cmp_lt_i32 s49, s62                                      // 000000002D64: BF043E31
	s_cbranch_scc1 label_005E                                  // 000000002D68: BF850003
	s_sub_i32 s49, s49, s62                                    // 000000002D6C: 81B13E31
	s_add_i32 s47, s47, 32                                     // 000000002D70: 812FA02F
	s_branch label_0059                                        // 000000002D74: BF82FFFB

0000000000002d78 <label_005E>:
	s_sub_i32 s50, s50, s47                                    // 000000002D78: 81B22F32
	s_cmp_lt_i32 s50, 32                                       // 000000002D7C: BF04A032
	s_cbranch_scc1 label_0064                                  // 000000002D80: BF850003
	s_lshr_b32 s48, s49, 5                                     // 000000002D84: 8F308531
	s_and_b32 s62, s49, 31                                     // 000000002D88: 863E9F31
	s_branch label_0084                                        // 000000002D8C: BF820020

0000000000002d90 <label_0064>:
	v_cvt_f32_u32_e32 v4, s50                                  // 000000002D90: 7E080C32
	s_sub_i32 s48, 0, s50                                      // 000000002D94: 81B03280
	v_rcp_iflag_f32_e32 v4, v4                                 // 000000002D98: 7E084704
	s_nop 0                                                    // 000000002D9C: BF800000
	v_mul_f32_e32 v4, 0x4f7ffffe, v4                           // 000000002DA0: 0A0808FF 4F7FFFFE
	v_cvt_u32_f32_e32 v4, v4                                   // 000000002DA8: 7E080F04
	v_mul_lo_u32 v5, s48, v4                                   // 000000002DAC: D2850005 00020830
	v_mul_hi_u32 v5, v4, v5                                    // 000000002DB4: D2860005 00020B04
	v_add_u32_e32 v4, v4, v5                                   // 000000002DBC: 68080B04
	v_mul_hi_u32 v4, s49, v4                                   // 000000002DC0: D2860004 00020831
	v_mul_lo_u32 v5, v4, s50                                   // 000000002DC8: D2850005 00006504
	v_sub_u32_e32 v7, s49, v5                                  // 000000002DD0: 6A0E0A31
	v_add_u32_e32 v6, 1, v4                                    // 000000002DD4: 680C0881
	v_cmp_le_u32_e32 vcc, s50, v7                              // 000000002DD8: 7D960E32
	v_subrev_u32_e32 v5, s50, v7                               // 000000002DDC: 6C0A0E32
	s_nop 0                                                    // 000000002DE0: BF800000
	v_cndmask_b32_e32 v4, v4, v6, vcc                          // 000000002DE4: 00080D04
	v_cndmask_b32_e32 v7, v7, v5, vcc                          // 000000002DE8: 000E0B07
	v_add_u32_e32 v5, 1, v4                                    // 000000002DEC: 680A0881
	v_cmp_le_u32_e32 vcc, s50, v7                              // 000000002DF0: 7D960E32
	s_nop 1                                                    // 000000002DF4: BF800001
	v_cndmask_b32_e32 v7, v4, v5, vcc                          // 000000002DF8: 000E0B04
	s_nop 3                                                    // 000000002DFC: BF800003
	v_readfirstlane_b32 s48, v7                                // 000000002E00: 7E600507
	s_nop 3                                                    // 000000002E04: BF800003
	s_mul_i32 s62, s50, s48                                    // 000000002E08: 923E3032
	s_sub_i32 s62, s49, s62                                    // 000000002E0C: 81BE3E31

0000000000002e10 <label_0084>:
	s_add_i32 s47, s62, s47                                    // 000000002E10: 812F2F3E
	s_lshr_b32 s37, s37, 1                                     // 000000002E14: 8F258125
	s_mul_i32 s62, s48, 0x60                                   // 000000002E18: 923EFF30 00000060
	s_mul_hi_u32 s63, s37, s62                                 // 000000002E20: 963F3E25
	s_add_u32 s13, s13, s63                                    // 000000002E24: 800D3F0D
	s_mul_i32 s63, s37, s62                                    // 000000002E28: 923F3E25
	s_add_u32 s12, s12, s63                                    // 000000002E2C: 800C3F0C
	s_addc_u32 s13, s13, 0                                     // 000000002E30: 820D800D
	s_sub_i32 s63, s43, s62                                    // 000000002E34: 81BF3E2B
	s_cmp_lt_u32 s63, 0x60                                     // 000000002E38: BF0AFF3F 00000060
	s_cselect_b32 s62, s63, 0x60                               // 000000002E40: 853EFF3F 00000060
	s_mul_i32 s14, s37, s62                                    // 000000002E48: 920E3E25
	s_mov_b32 s15, 0x20000                                     // 000000002E4C: BE8F00FF 00020000
	v_lshrrev_b32_e32 v4, 3, v0                                // 000000002E54: 20080083
	v_lshrrev_b32_e32 v5, 2, v4                                // 000000002E58: 200A0882
	v_lshlrev_b32_e32 v5, 4, v5                                // 000000002E5C: 240A0A84
	v_and_b32_e32 v4, 3, v4                                    // 000000002E60: 26080883
	v_lshrrev_b32_e32 v6, 1, v4                                // 000000002E64: 200C0881
	v_lshlrev_b32_e32 v6, 2, v6                                // 000000002E68: 240C0C82
	v_add_u32_e32 v5, v5, v6                                   // 000000002E6C: 680A0D05
	v_and_b32_e32 v4, 1, v4                                    // 000000002E70: 26080881
	v_add_u32_e32 v5, v5, v4                                   // 000000002E74: 680A0905
	v_mul_lo_u32 v178, s37, v5                                 // 000000002E78: D28500B2 00020A25
	v_and_b32_e32 v4, 7, v0                                    // 000000002E80: 26080087
	v_lshlrev_b32_e32 v4, 4, v4                                // 000000002E84: 24080884
	v_add_u32_e32 v178, v4, v178                               // 000000002E88: 69656504
	s_lshr_b32 s62, s46, 1                                     // 000000002E8C: 8F3E812E
	s_mul_i32 s62, s62, 8                                      // 000000002E90: 923E883E
	s_and_b32 s63, s46, 1                                      // 000000002E94: 863F812E
	s_mul_i32 s63, s63, 2                                      // 000000002E98: 923F823F
	s_add_u32 s62, s62, s63                                    // 000000002E9C: 803E3F3E
	s_mul_i32 s62, s37, s62                                    // 000000002EA0: 923E3E25
	v_add_u32_e32 v178, s62, v178                              // 000000002EA4: 6965643E
	s_mul_i32 s62, s37, 32                                     // 000000002EA8: 923EA025
	v_add_u32_e32 v179, s62, v178                              // 000000002EAC: 6967643E
	v_add_u32_e32 v180, s62, v179                              // 000000002EB0: 6969663E
	s_mul_i32 s64, 0x420, s46                                  // 000000002EB4: 92402EFF 00000420
	s_add_u32 s64, 0x1000, s64                                 // 000000002EBC: 804040FF 00001000
	v_and_b32_e32 v4, 15, v0                                   // 000000002EC4: 2608008F
	v_lshrrev_b32_e32 v5, 3, v4                                // 000000002EC8: 200A0883
	v_mul_i32_i24_e32 v5, 2, v5                                // 000000002ECC: 0C0A0A82
	v_and_b32_e32 v4, 3, v0                                    // 000000002ED0: 26080083
	v_lshrrev_b32_e32 v6, 1, v4                                // 000000002ED4: 200C0881
	v_add_u32_e32 v4, v5, v6                                   // 000000002ED8: 68080D05
	v_mul_i32_i24_e32 v181, 0x420, v4                          // 000000002EDC: 0D6A08FF 00000420
	v_and_b32_e32 v4, 7, v0                                    // 000000002EE4: 26080087
	v_lshrrev_b32_e32 v5, 2, v4                                // 000000002EE8: 200A0882
	v_mul_i32_i24_e32 v5, 0x100, v5                            // 000000002EEC: 0C0A0AFF 00000100
	v_add_u32_e32 v181, v5, v181                               // 000000002EF4: 696B6B05
	v_and_b32_e32 v4, 1, v0                                    // 000000002EF8: 26080081
	v_mul_i32_i24_e32 v6, 0x80, v4                             // 000000002EFC: 0C0C08FF 00000080
	v_add_u32_e32 v181, v6, v181                               // 000000002F04: 696B6B06
	v_lshrrev_b32_e32 v4, 4, v0                                // 000000002F08: 20080084
	v_mul_i32_i24_e32 v4, 16, v4                               // 000000002F0C: 0C080890
	v_add_u32_e32 v181, v4, v181                               // 000000002F10: 696B6B04
	v_add_u32_e32 v181, 0x1000, v181                           // 000000002F14: 696B6AFF 00001000
	v_add_u32_e32 v182, 0x3180, v181                           // 000000002F1C: 696D6AFF 00003180
	v_add_u32_e32 v183, 0x3180, v182                           // 000000002F24: 696F6CFF 00003180
	v_add_u32_e32 v184, 0x3180, v183                           // 000000002F2C: 69716EFF 00003180
	s_mul_i32 s62, s48, 0x60                                   // 000000002F34: 923EFF30 00000060
	s_mul_hi_u32 s63, s39, s62                                 // 000000002F3C: 963F3E27
	s_add_u32 s21, s21, s63                                    // 000000002F40: 80153F15
	s_mul_i32 s63, s39, s62                                    // 000000002F44: 923F3E27
	s_add_u32 s20, s20, s63                                    // 000000002F48: 80143F14
	s_addc_u32 s21, s21, 0                                     // 000000002F4C: 82158015
	s_add_u32 s63, s43, 31                                     // 000000002F50: 803F9F2B
	s_lshr_b32 s63, s63, 5                                     // 000000002F54: 8F3F853F
	s_lshl_b32 s63, s63, 5                                     // 000000002F58: 8E3F853F
	s_sub_i32 s63, s63, s62                                    // 000000002F5C: 81BF3E3F
	s_cmp_lt_u32 s63, 0x60                                     // 000000002F60: BF0AFF3F 00000060
	s_cselect_b32 s62, s63, 0x60                               // 000000002F68: 853EFF3F 00000060
	s_mul_i32 s22, s39, s62                                    // 000000002F70: 92163E27
	s_mov_b32 s23, 0x20000                                     // 000000002F74: BE9700FF 00020000
	v_lshlrev_b32_e32 v185, 2, v0                              // 000000002F7C: 25720082
	s_mul_i32 s63, s46, 32                                     // 000000002F80: 923FA02E
	s_mul_i32 s63, s63, s39                                    // 000000002F84: 923F273F
	v_add_u32_e32 v185, s63, v185                              // 000000002F88: 6973723F
	s_mul_i32 s65, s46, 0x100                                  // 000000002F8C: 9241FF2E 00000100
	s_add_i32 s65, s65, 0                                      // 000000002F94: 81418041
	v_lshlrev_b32_e32 v186, 2, v0                              // 000000002F98: 25740082
	v_add_u32_e32 v186, 0, v186                                // 000000002F9C: 69757480
	s_lshr_b32 s38, s38, 1                                     // 000000002FA0: 8F268126
	s_mul_i32 s62, s47, 0x80                                   // 000000002FA4: 923EFF2F 00000080
	s_mul_hi_u32 s63, s38, s62                                 // 000000002FAC: 963F3E26
	s_add_u32 s17, s17, s63                                    // 000000002FB0: 80113F11
	s_mul_i32 s63, s38, s62                                    // 000000002FB4: 923F3E26
	s_add_u32 s16, s16, s63                                    // 000000002FB8: 80103F10
	s_addc_u32 s17, s17, 0                                     // 000000002FBC: 82118011
	s_sub_i32 s63, s44, s62                                    // 000000002FC0: 81BF3E2C
	s_cmp_lt_u32 s63, 0x80                                     // 000000002FC4: BF0AFF3F 00000080
	s_cselect_b32 s62, s63, 0x80                               // 000000002FCC: 853EFF3F 00000080
	s_mul_i32 s18, s38, s62                                    // 000000002FD4: 92123E26
	s_mov_b32 s19, 0x20000                                     // 000000002FD8: BE9300FF 00020000
	v_lshlrev_b32_e32 v187, 4, v0                              // 000000002FE0: 25760084
	s_mul_i32 s63, s46, 32                                     // 000000002FE4: 923FA02E
	s_mul_i32 s62, s63, s38                                    // 000000002FE8: 923E263F
	v_add_u32_e32 v187, s62, v187                              // 000000002FEC: 6977763E
	s_mul_i32 s62, 16, s38                                     // 000000002FF0: 923E2690
	v_add_u32_e32 v188, s62, v187                              // 000000002FF4: 6979763E
	s_mul_i32 s62, s47, 0x80                                   // 000000002FF8: 923EFF2F 00000080
	s_mul_hi_u32 s63, s40, s62                                 // 000000003000: 963F3E28
	s_add_u32 s25, s25, s63                                    // 000000003004: 80193F19
	s_mul_i32 s63, s40, s62                                    // 000000003008: 923F3E28
	s_add_u32 s24, s24, s63                                    // 00000000300C: 80183F18
	s_addc_u32 s25, s25, 0                                     // 000000003010: 82198019
	s_sub_i32 s63, s44, s62                                    // 000000003014: 81BF3E2C
	s_cmp_lt_u32 s63, 0x80                                     // 000000003018: BF0AFF3F 00000080
	s_cselect_b32 s62, s63, 0x80                               // 000000003020: 853EFF3F 00000080
	s_mul_i32 s26, s40, s62                                    // 000000003028: 921A3E28
	s_mov_b32 s27, 0x20000                                     // 00000000302C: BE9B00FF 00020000
	v_lshlrev_b32_e32 v189, 2, v0                              // 000000003034: 257A0082
	s_mul_i32 s63, s46, 32                                     // 000000003038: 923FA02E
	s_mul_i32 s63, s63, s40                                    // 00000000303C: 923F283F
	v_add_u32_e32 v189, s63, v189                              // 000000003040: 697B7A3F
	s_mov_b32 s66, 0x80                                        // 000000003044: BEC200FF 00000080
	s_mov_b32 s67, 0x800                                       // 00000000304C: BEC300FF 00000800
	s_mov_b32 s68, 0x100                                       // 000000003054: BEC400FF 00000100
	s_mov_b32 s69, 0x100                                       // 00000000305C: BEC500FF 00000100
	s_mov_b32 s60, 0                                           // 000000003064: BEBC0080
	s_mov_b32 s61, s45                                         // 000000003068: BEBD002D
	s_add_u32 m0, 0, s65                                       // 00000000306C: 807C4180
	buffer_load_dword v185, s[20:23], 0 offen lds              // 000000003070: E0511000 800500B9
	v_accvgpr_write_b32 a0, 0                                  // 000000003078: D3D94000 18000080
	v_accvgpr_write_b32 a1, 0                                  // 000000003080: D3D94001 18000080
	v_accvgpr_write_b32 a2, 0                                  // 000000003088: D3D94002 18000080
	v_accvgpr_write_b32 a3, 0                                  // 000000003090: D3D94003 18000080
	v_accvgpr_write_b32 a4, 0                                  // 000000003098: D3D94004 18000080
	v_accvgpr_write_b32 a5, 0                                  // 0000000030A0: D3D94005 18000080
	s_add_u32 m0, 0, s64                                       // 0000000030A8: 807C4080
	buffer_load_dwordx4 v178, s[12:15], 0 offen lds            // 0000000030AC: E05D1000 800300B2
	v_accvgpr_write_b32 a6, 0                                  // 0000000030B4: D3D94006 18000080
	v_accvgpr_write_b32 a7, 0                                  // 0000000030BC: D3D94007 18000080
	v_accvgpr_write_b32 a8, 0                                  // 0000000030C4: D3D94008 18000080
	v_accvgpr_write_b32 a9, 0                                  // 0000000030CC: D3D94009 18000080
	v_accvgpr_write_b32 a10, 0                                 // 0000000030D4: D3D9400A 18000080
	v_accvgpr_write_b32 a11, 0                                 // 0000000030DC: D3D9400B 18000080
	s_add_u32 m0, 0x1080, s64                                  // 0000000030E4: 807C40FF 00001080
	buffer_load_dwordx4 v179, s[12:15], 0 offen lds            // 0000000030EC: E05D1000 800300B3
	v_accvgpr_write_b32 a12, 0                                 // 0000000030F4: D3D9400C 18000080
	v_accvgpr_write_b32 a13, 0                                 // 0000000030FC: D3D9400D 18000080
	v_accvgpr_write_b32 a14, 0                                 // 000000003104: D3D9400E 18000080
	v_accvgpr_write_b32 a15, 0                                 // 00000000310C: D3D9400F 18000080
	v_accvgpr_write_b32 a16, 0                                 // 000000003114: D3D94010 18000080
	v_accvgpr_write_b32 a17, 0                                 // 00000000311C: D3D94011 18000080
	s_add_u32 m0, 0x2100, s64                                  // 000000003124: 807C40FF 00002100
	buffer_load_dwordx4 v180, s[12:15], 0 offen lds            // 00000000312C: E05D1000 800300B4
	v_accvgpr_write_b32 a18, 0                                 // 000000003134: D3D94012 18000080
	v_accvgpr_write_b32 a19, 0                                 // 00000000313C: D3D94013 18000080
	v_accvgpr_write_b32 a20, 0                                 // 000000003144: D3D94014 18000080
	v_accvgpr_write_b32 a21, 0                                 // 00000000314C: D3D94015 18000080
	v_accvgpr_write_b32 a22, 0                                 // 000000003154: D3D94016 18000080
	v_accvgpr_write_b32 a23, 0                                 // 00000000315C: D3D94017 18000080
	buffer_load_dwordx4 v[104:107], v187, s[16:19], 0 offen    // 000000003164: E05C1000 800468BB
	v_accvgpr_write_b32 a24, 0                                 // 00000000316C: D3D94018 18000080
	v_accvgpr_write_b32 a25, 0                                 // 000000003174: D3D94019 18000080
	v_accvgpr_write_b32 a26, 0                                 // 00000000317C: D3D9401A 18000080
	v_accvgpr_write_b32 a27, 0                                 // 000000003184: D3D9401B 18000080
	v_accvgpr_write_b32 a28, 0                                 // 00000000318C: D3D9401C 18000080
	v_accvgpr_write_b32 a29, 0                                 // 000000003194: D3D9401D 18000080
	buffer_load_dwordx4 v[108:111], v188, s[16:19], 0 offen    // 00000000319C: E05C1000 80046CBC
	v_accvgpr_write_b32 a30, 0                                 // 0000000031A4: D3D9401E 18000080
	v_accvgpr_write_b32 a31, 0                                 // 0000000031AC: D3D9401F 18000080
	v_accvgpr_write_b32 a32, 0                                 // 0000000031B4: D3D94020 18000080
	v_accvgpr_write_b32 a33, 0                                 // 0000000031BC: D3D94021 18000080
	v_accvgpr_write_b32 a34, 0                                 // 0000000031C4: D3D94022 18000080
	v_accvgpr_write_b32 a35, 0                                 // 0000000031CC: D3D94023 18000080
	buffer_load_dwordx4 v[112:115], v187, s[16:19], 0 offen offset:1024// 0000000031D4: E05C1400 800470BB
	v_accvgpr_write_b32 a36, 0                                 // 0000000031DC: D3D94024 18000080
	v_accvgpr_write_b32 a37, 0                                 // 0000000031E4: D3D94025 18000080
	v_accvgpr_write_b32 a38, 0                                 // 0000000031EC: D3D94026 18000080
	v_accvgpr_write_b32 a39, 0                                 // 0000000031F4: D3D94027 18000080
	v_accvgpr_write_b32 a40, 0                                 // 0000000031FC: D3D94028 18000080
	v_accvgpr_write_b32 a41, 0                                 // 000000003204: D3D94029 18000080
	buffer_load_dwordx4 v[116:119], v188, s[16:19], 0 offen offset:1024// 00000000320C: E05C1400 800474BC
	v_accvgpr_write_b32 a42, 0                                 // 000000003214: D3D9402A 18000080
	v_accvgpr_write_b32 a43, 0                                 // 00000000321C: D3D9402B 18000080
	v_accvgpr_write_b32 a44, 0                                 // 000000003224: D3D9402C 18000080
	v_accvgpr_write_b32 a45, 0                                 // 00000000322C: D3D9402D 18000080
	v_accvgpr_write_b32 a46, 0                                 // 000000003234: D3D9402E 18000080
	v_accvgpr_write_b32 a47, 0                                 // 00000000323C: D3D9402F 18000080
	buffer_load_dword v174, v189, s[24:27], 0 offen            // 000000003244: E0501000 8006AEBD
	s_add_u32 s62, 0x100, s60                                  // 00000000324C: 803E3CFF 00000100
	s_cmp_lt_u32 s62, s61                                      // 000000003254: BF0A3D3E
	s_cselect_b32 s66, s66, 0                                  // 000000003258: 85428042
	s_cselect_b32 s68, s68, 0                                  // 00000000325C: 85448044
	s_add_u32 s12, s12, s66                                    // 000000003260: 800C420C
	s_addc_u32 s13, 0, s13                                     // 000000003264: 820D0D80
	s_sub_u32 s14, s14, s66                                    // 000000003268: 808E420E
	s_add_u32 s20, s20, s68                                    // 00000000326C: 80144414
	s_addc_u32 s21, 0, s21                                     // 000000003270: 82151580
	s_sub_u32 s22, s22, s68                                    // 000000003274: 80964416
	s_add_u32 s63, 0x100, s60                                  // 000000003278: 803F3CFF 00000100
	s_cmp_lt_u32 s63, s61                                      // 000000003280: BF0A3D3F
	s_cselect_b32 s67, s67, 0                                  // 000000003284: 85438043
	s_cselect_b32 s69, s69, 0                                  // 000000003288: 85458045
	s_add_u32 s16, s16, s67                                    // 00000000328C: 80104310
	s_addc_u32 s17, 0, s17                                     // 000000003290: 82111180
	s_sub_u32 s18, s18, s67                                    // 000000003294: 80924312
	s_add_u32 s24, s24, s69                                    // 000000003298: 80184518
	s_addc_u32 s25, 0, s25                                     // 00000000329C: 82191980
	s_sub_u32 s26, s26, s69                                    // 0000000032A0: 809A451A
	s_add_u32 m0, 0x400, s65                                   // 0000000032A4: 807C41FF 00000400
	buffer_load_dword v185, s[20:23], 0 offen lds              // 0000000032AC: E0511000 800500B9
	s_add_u32 m0, 0x3180, s64                                  // 0000000032B4: 807C40FF 00003180
	buffer_load_dwordx4 v178, s[12:15], 0 offen lds            // 0000000032BC: E05D1000 800300B2
	s_add_u32 m0, 0x4200, s64                                  // 0000000032C4: 807C40FF 00004200
	buffer_load_dwordx4 v179, s[12:15], 0 offen lds            // 0000000032CC: E05D1000 800300B3
	s_add_u32 m0, 0x5280, s64                                  // 0000000032D4: 807C40FF 00005280
	buffer_load_dwordx4 v180, s[12:15], 0 offen lds            // 0000000032DC: E05D1000 800300B4
	buffer_load_dwordx4 v[120:123], v187, s[16:19], 0 offen    // 0000000032E4: E05C1000 800478BB
	buffer_load_dwordx4 v[124:127], v188, s[16:19], 0 offen    // 0000000032EC: E05C1000 80047CBC
	buffer_load_dwordx4 v[128:131], v187, s[16:19], 0 offen offset:1024// 0000000032F4: E05C1400 800480BB
	buffer_load_dwordx4 v[132:135], v188, s[16:19], 0 offen offset:1024// 0000000032FC: E05C1400 800484BC
	buffer_load_dword v175, v189, s[24:27], 0 offen            // 000000003304: E0501000 8006AFBD
	s_add_u32 s62, 0x200, s60                                  // 00000000330C: 803E3CFF 00000200
	s_cmp_lt_u32 s62, s61                                      // 000000003314: BF0A3D3E
	s_cselect_b32 s66, s66, 0                                  // 000000003318: 85428042
	s_cselect_b32 s68, s68, 0                                  // 00000000331C: 85448044
	s_add_u32 s12, s12, s66                                    // 000000003320: 800C420C
	s_addc_u32 s13, 0, s13                                     // 000000003324: 820D0D80
	s_sub_u32 s14, s14, s66                                    // 000000003328: 808E420E
	s_add_u32 s20, s20, s68                                    // 00000000332C: 80144414
	s_addc_u32 s21, 0, s21                                     // 000000003330: 82151580
	s_sub_u32 s22, s22, s68                                    // 000000003334: 80964416
	s_add_u32 s63, 0x200, s60                                  // 000000003338: 803F3CFF 00000200
	s_cmp_lt_u32 s63, s61                                      // 000000003340: BF0A3D3F
	s_cselect_b32 s67, s67, 0                                  // 000000003344: 85438043
	s_cselect_b32 s69, s69, 0                                  // 000000003348: 85458045
	s_add_u32 s16, s16, s67                                    // 00000000334C: 80104310
	s_addc_u32 s17, 0, s17                                     // 000000003350: 82111180
	s_sub_u32 s18, s18, s67                                    // 000000003354: 80924312
	s_add_u32 s24, s24, s69                                    // 000000003358: 80184518
	s_addc_u32 s25, 0, s25                                     // 00000000335C: 82191980
	s_sub_u32 s26, s26, s69                                    // 000000003360: 809A451A
	s_add_u32 m0, 0x800, s65                                   // 000000003364: 807C41FF 00000800
	buffer_load_dword v185, s[20:23], 0 offen lds              // 00000000336C: E0511000 800500B9
	s_add_u32 m0, 0x6300, s64                                  // 000000003374: 807C40FF 00006300
	buffer_load_dwordx4 v178, s[12:15], 0 offen lds            // 00000000337C: E05D1000 800300B2
	s_add_u32 m0, 0x7380, s64                                  // 000000003384: 807C40FF 00007380
	buffer_load_dwordx4 v179, s[12:15], 0 offen lds            // 00000000338C: E05D1000 800300B3
	s_add_u32 m0, 0x8400, s64                                  // 000000003394: 807C40FF 00008400
	buffer_load_dwordx4 v180, s[12:15], 0 offen lds            // 00000000339C: E05D1000 800300B4
	buffer_load_dwordx4 v[136:139], v187, s[16:19], 0 offen    // 0000000033A4: E05C1000 800488BB
	buffer_load_dwordx4 v[140:143], v188, s[16:19], 0 offen    // 0000000033AC: E05C1000 80048CBC
	buffer_load_dwordx4 v[144:147], v187, s[16:19], 0 offen offset:1024// 0000000033B4: E05C1400 800490BB
	buffer_load_dwordx4 v[148:151], v188, s[16:19], 0 offen offset:1024// 0000000033BC: E05C1400 800494BC
	buffer_load_dword v176, v189, s[24:27], 0 offen            // 0000000033C4: E0501000 8006B0BD
	s_add_u32 s62, 0x300, s60                                  // 0000000033CC: 803E3CFF 00000300
	s_cmp_lt_u32 s62, s61                                      // 0000000033D4: BF0A3D3E
	s_cselect_b32 s66, s66, 0                                  // 0000000033D8: 85428042
	s_cselect_b32 s68, s68, 0                                  // 0000000033DC: 85448044
	s_add_u32 s12, s12, s66                                    // 0000000033E0: 800C420C
	s_addc_u32 s13, 0, s13                                     // 0000000033E4: 820D0D80
	s_sub_u32 s14, s14, s66                                    // 0000000033E8: 808E420E
	s_add_u32 s20, s20, s68                                    // 0000000033EC: 80144414
	s_addc_u32 s21, 0, s21                                     // 0000000033F0: 82151580
	s_sub_u32 s22, s22, s68                                    // 0000000033F4: 80964416
	s_add_u32 s63, 0x300, s60                                  // 0000000033F8: 803F3CFF 00000300
	s_cmp_lt_u32 s63, s61                                      // 000000003400: BF0A3D3F
	s_cselect_b32 s67, s67, 0                                  // 000000003404: 85438043
	s_cselect_b32 s69, s69, 0                                  // 000000003408: 85458045
	s_add_u32 s16, s16, s67                                    // 00000000340C: 80104310
	s_addc_u32 s17, 0, s17                                     // 000000003410: 82111180
	s_sub_u32 s18, s18, s67                                    // 000000003414: 80924312
	s_add_u32 s24, s24, s69                                    // 000000003418: 80184518
	s_addc_u32 s25, 0, s25                                     // 00000000341C: 82191980
	s_sub_u32 s26, s26, s69                                    // 000000003420: 809A451A
	s_waitcnt vmcnt(24)                                        // 000000003424: BF8C4F78
	s_barrier                                                  // 000000003428: BF8A0000
	ds_read_b128 v[8:11], v181                                 // 00000000342C: D9FE0000 080000B5
	ds_read_b128 v[16:19], v181 offset:64                      // 000000003434: D9FE0040 100000B5
	ds_read_b128 v[12:15], v181 offset:512                     // 00000000343C: D9FE0200 0C0000B5
	ds_read_b128 v[20:23], v181 offset:576                     // 000000003444: D9FE0240 140000B5
	ds_read_b32 v168, v186                                     // 00000000344C: D86C0000 A80000BA
	ds_read_b128 v[24:27], v181 offset:4224                    // 000000003454: D9FE1080 180000B5
	ds_read_b128 v[32:35], v181 offset:4288                    // 00000000345C: D9FE10C0 200000B5
	ds_read_b128 v[28:31], v181 offset:4736                    // 000000003464: D9FE1280 1C0000B5
	ds_read_b128 v[36:39], v181 offset:4800                    // 00000000346C: D9FE12C0 240000B5
	ds_read_b32 v169, v186 offset:256                          // 000000003474: D86C0100 A90000BA
	s_nop 0                                                    // 00000000347C: BF800000
	s_nop 0                                                    // 000000003480: BF800000
	s_nop 0                                                    // 000000003484: BF800000
	;; [unrolled: 1-line block ×3, first 2 shown]
	s_nop 0                                                    // 00000000348C: BF800000
	s_lshl_b32 s36, s36, 1                                     // 000000003490: 8E248124
	s_mul_i32 s62, s48, 0x60                                   // 000000003494: 923EFF30 00000060
	s_mul_hi_u32 s63, s36, s62                                 // 00000000349C: 963F3E24
	s_add_u32 s5, s5, s63                                      // 0000000034A0: 80053F05
	s_mul_i32 s63, s36, s62                                    // 0000000034A4: 923F3E24
	s_add_u32 s4, s4, s63                                      // 0000000034A8: 80043F04
	s_addc_u32 s5, s5, 0                                       // 0000000034AC: 82058005
	s_mul_i32 s63, s47, 0x80                                   // 0000000034B0: 923FFF2F 00000080
	s_lshl_b32 s63, s63, 1                                     // 0000000034B8: 8E3F813F
	s_add_u32 s4, s4, s63                                      // 0000000034BC: 80043F04
	s_addc_u32 s5, s5, 0                                       // 0000000034C0: 82058005
	s_sub_i32 s62, s43, s62                                    // 0000000034C4: 81BE3E2B
	s_cmp_lt_u32 s62, 0x60                                     // 0000000034C8: BF0AFF3E 00000060
	s_cselect_b32 s62, s62, 0x60                               // 0000000034D0: 853EFF3E 00000060
	s_mul_i32 s62, s36, s62                                    // 0000000034D8: 923E3E24
	s_sub_i32 s6, s62, s63                                     // 0000000034DC: 81863F3E
	s_mov_b32 s7, 0x20000                                      // 0000000034E0: BE8700FF 00020000
	s_mul_i32 s62, s46, 32                                     // 0000000034E8: 923EA02E
	s_lshl_b32 s62, s62, 1                                     // 0000000034EC: 8E3E813E
	v_lshrrev_b32_e32 v4, 5, v0                                // 0000000034F0: 20080085
	v_mul_i32_i24_e32 v4, 16, v4                               // 0000000034F4: 0C080890
	v_lshrrev_b32_e32 v5, 4, v0                                // 0000000034F8: 200A0084
	v_and_b32_e32 v5, 1, v5                                    // 0000000034FC: 260A0A81
	v_mul_i32_i24_e32 v5, 32, v5                               // 000000003500: 0C0A0AA0
	v_add_u32_e32 v4, v4, v5                                   // 000000003504: 68080B04
	v_and_b32_e32 v5, 15, v0                                   // 000000003508: 260A008F
	v_mul_lo_u32 v190, s36, v5                                 // 00000000350C: D28500BE 00020A24
	v_add_u32_e32 v190, s62, v190                              // 000000003514: 697D7C3E
	v_add_u32_e32 v190, v4, v190                               // 000000003518: 697D7D04
	s_cmp_lt_i32 s46, 2                                        // 00000000351C: BF04822E
	s_cbranch_scc0 label_0520                                  // 000000003520: BF8402D7

0000000000003524 <label_0249>:
	s_waitcnt vmcnt(18) lgkmcnt(5)                             // 000000003524: BF8C4572
	s_barrier                                                  // 000000003528: BF8A0000
	v_mfma_scale_f32_16x16x128_f8f6f4 a[0:3], v[104:107], v[8:11], a[0:3], v174, v168 op_sel_hi:[0,0,0] cbsz:4 blgp:4// 00000000352C: D3AC6000 000351AE D3AD8C00 84021168
	ds_read_b128 v[40:43], v181 offset:8448                    // 00000000353C: D9FE2100 280000B5
	v_mfma_scale_f32_16x16x128_f8f6f4 a[4:7], v[104:107], v[12:15], a[4:7], v174, v168 op_sel_hi:[0,0,0] cbsz:4 blgp:4// 000000003544: D3AC7000 000351AE D3AD8C04 84121968
	s_add_u32 m0, 0xc00, s65                                   // 000000003554: 807C41FF 00000C00
	buffer_load_dword v185, s[20:23], 0 offen lds              // 00000000355C: E0511000 800500B9
	v_mfma_scale_f32_16x16x128_f8f6f4 a[8:11], v[108:111], v[8:11], a[8:11], v174, v168 op_sel_hi:[0,0,0] cbsz:4 blgp:4// 000000003564: D3AC0800 000351AE D3AD8C08 8422116C
	ds_read_b128 v[48:51], v181 offset:8512                    // 000000003574: D9FE2140 300000B5
	v_mfma_scale_f32_16x16x128_f8f6f4 a[12:15], v[108:111], v[12:15], a[12:15], v174, v168 op_sel_hi:[0,0,0] cbsz:4 blgp:4// 00000000357C: D3AC7800 000351AE D3AD8C0C 8432196C
	s_add_u32 m0, 0x9480, s64                                  // 00000000358C: 807C40FF 00009480
	buffer_load_dwordx4 v178, s[12:15], 0 offen lds            // 000000003594: E05D1000 800300B2
	v_mfma_scale_f32_16x16x128_f8f6f4 a[0:3], v[112:115], v[16:19], a[0:3], v174, v168 op_sel_hi:[0,0,0] cbsz:4 blgp:4// 00000000359C: D3AC6000 180351AE D3AD8C00 84022170
	ds_read_b128 v[44:47], v181 offset:8960                    // 0000000035AC: D9FE2300 2C0000B5
	v_mfma_scale_f32_16x16x128_f8f6f4 a[4:7], v[112:115], v[20:23], a[4:7], v174, v168 op_sel_hi:[0,0,0] cbsz:4 blgp:4// 0000000035B4: D3AC7000 180351AE D3AD8C04 84122970
	s_add_u32 m0, 0xa500, s64                                  // 0000000035C4: 807C40FF 0000A500
	buffer_load_dwordx4 v179, s[12:15], 0 offen lds            // 0000000035CC: E05D1000 800300B3
	v_mfma_scale_f32_16x16x128_f8f6f4 a[8:11], v[116:119], v[16:19], a[8:11], v174, v168 op_sel_hi:[0,0,0] cbsz:4 blgp:4// 0000000035D4: D3AC6800 180351AE D3AD8C08 84222174
	ds_read_b128 v[52:55], v181 offset:9024                    // 0000000035E4: D9FE2340 340000B5
	v_mfma_scale_f32_16x16x128_f8f6f4 a[12:15], v[116:119], v[20:23], a[12:15], v174, v168 op_sel_hi:[0,0,0] cbsz:4 blgp:4// 0000000035EC: D3AC7800 180351AE D3AD8C0C 84322974
	s_add_u32 m0, 0xb580, s64                                  // 0000000035FC: 807C40FF 0000B580
	buffer_load_dwordx4 v180, s[12:15], 0 offen lds            // 000000003604: E05D1000 800300B4
	ds_read_b32 v170, v186 offset:512                          // 00000000360C: D86C0200 AA0000BA
	s_waitcnt vmcnt(19) lgkmcnt(5)                             // 000000003614: BF8C4573
	s_barrier                                                  // 000000003618: BF8A0000
	v_mfma_scale_f32_16x16x128_f8f6f4 a[16:19], v[104:107], v[24:27], a[16:19], v174, v169 op_sel_hi:[0,0,0] cbsz:4 blgp:4// 00000000361C: D3AC6000 000353AE D3AD8C10 84423168
	s_add_u32 s62, 0x400, s60                                  // 00000000362C: 803E3CFF 00000400
	ds_read_b128 v[56:59], v182                                // 000000003634: D9FE0000 380000B6
	v_mfma_scale_f32_16x16x128_f8f6f4 a[20:23], v[104:107], v[28:31], a[20:23], v174, v169 op_sel_hi:[0,0,0] cbsz:4 blgp:4// 00000000363C: D3AC7000 000353AE D3AD8C14 84523968
	s_cmp_lt_u32 s62, s61                                      // 00000000364C: BF0A3D3E
	buffer_load_dwordx4 v[152:155], v187, s[16:19], 0 offen    // 000000003650: E05C1000 800498BB
	v_mfma_scale_f32_16x16x128_f8f6f4 a[24:27], v[108:111], v[24:27], a[24:27], v174, v169 op_sel_hi:[0,0,0] cbsz:4 blgp:4// 000000003658: D3AC6800 000353AE D3AD8C18 8462316C
	s_cselect_b32 s66, s66, 0                                  // 000000003668: 85428042
	ds_read_b128 v[64:67], v182 offset:64                      // 00000000366C: D9FE0040 400000B6
	v_mfma_scale_f32_16x16x128_f8f6f4 a[28:31], v[108:111], v[28:31], a[28:31], v174, v169 op_sel_hi:[0,0,0] cbsz:4 blgp:4// 000000003674: D3AC7800 000353AE D3AD8C1C 8472396C
	s_cselect_b32 s68, s68, 0                                  // 000000003684: 85448044
	buffer_load_dwordx4 v[156:159], v188, s[16:19], 0 offen    // 000000003688: E05C1000 80049CBC
	v_mfma_scale_f32_16x16x128_f8f6f4 a[16:19], v[112:115], v[32:35], a[16:19], v174, v169 op_sel_hi:[0,0,0] cbsz:4 blgp:4// 000000003690: D3AC6000 180353AE D3AD8C10 84424170
	s_add_u32 s12, s12, s66                                    // 0000000036A0: 800C420C
	ds_read_b128 v[60:63], v182 offset:512                     // 0000000036A4: D9FE0200 3C0000B6
	v_mfma_scale_f32_16x16x128_f8f6f4 a[20:23], v[112:115], v[36:39], a[20:23], v174, v169 op_sel_hi:[0,0,0] cbsz:4 blgp:4// 0000000036AC: D3AC7000 180353AE D3AD8C14 84524970
	s_addc_u32 s13, 0, s13                                     // 0000000036BC: 820D0D80
	buffer_load_dwordx4 v[160:163], v187, s[16:19], 0 offen offset:1024// 0000000036C0: E05C1400 8004A0BB
	v_mfma_scale_f32_16x16x128_f8f6f4 a[24:27], v[116:119], v[32:35], a[24:27], v174, v169 op_sel_hi:[0,0,0] cbsz:4 blgp:4// 0000000036C8: D3AC6800 180353AE D3AD8C18 84624174
	s_sub_u32 s14, s14, s66                                    // 0000000036D8: 808E420E
	ds_read_b128 v[68:71], v182 offset:576                     // 0000000036DC: D9FE0240 440000B6
	v_mfma_scale_f32_16x16x128_f8f6f4 a[28:31], v[116:119], v[36:39], a[28:31], v174, v169 op_sel_hi:[0,0,0] cbsz:4 blgp:4// 0000000036E4: D3AC7800 180353AE D3AD8C1C 84724974
	s_add_u32 s20, s20, s68                                    // 0000000036F4: 80144414
	buffer_load_dwordx4 v[164:167], v188, s[16:19], 0 offen offset:1024// 0000000036F8: E05C1400 8004A4BC
	ds_read_b32 v171, v186 offset:1024                         // 000000003700: D86C0400 AB0000BA
	s_waitcnt lgkmcnt(5)                                       // 000000003708: BF8CC57F
	v_mfma_scale_f32_16x16x128_f8f6f4 a[32:35], v[104:107], v[40:43], a[32:35], v174, v170 op_sel_hi:[0,0,0] cbsz:4 blgp:4// 00000000370C: D3AC6000 000355AE D3AD8C20 84825168
	s_addc_u32 s21, 0, s21                                     // 00000000371C: 82151580
	ds_read_b128 v[72:75], v182 offset:4224                    // 000000003720: D9FE1080 480000B6
	v_mfma_scale_f32_16x16x128_f8f6f4 a[36:39], v[104:107], v[44:47], a[36:39], v174, v170 op_sel_hi:[0,0,0] cbsz:4 blgp:4// 000000003728: D3AC7000 000355AE D3AD8C24 84925968
	s_sub_u32 s22, s22, s68                                    // 000000003738: 80964416
	buffer_load_dword v177, v189, s[24:27], 0 offen            // 00000000373C: E0501000 8006B1BD
	v_mfma_scale_f32_16x16x128_f8f6f4 a[40:43], v[108:111], v[40:43], a[40:43], v174, v170 op_sel_hi:[0,0,0] cbsz:4 blgp:4// 000000003744: D3AC6800 000355AE D3AD8C28 84A2516C
	s_add_u32 s63, 0x400, s60                                  // 000000003754: 803F3CFF 00000400
	ds_read_b128 v[80:83], v182 offset:4288                    // 00000000375C: D9FE10C0 500000B6
	v_mfma_scale_f32_16x16x128_f8f6f4 a[44:47], v[108:111], v[44:47], a[44:47], v174, v170 op_sel_hi:[0,0,0] cbsz:4 blgp:4// 000000003764: D3AC7800 000355AE D3AD8C2C 84B2596C
	s_cmp_lt_u32 s63, s61                                      // 000000003774: BF0A3D3F
	s_cselect_b32 s67, s67, 0                                  // 000000003778: 85438043
	v_mfma_scale_f32_16x16x128_f8f6f4 a[32:35], v[112:115], v[48:51], a[32:35], v174, v170 op_sel_hi:[0,0,0] cbsz:4 blgp:4// 00000000377C: D3AC6000 180355AE D3AD8C20 84826170
	s_cselect_b32 s69, s69, 0                                  // 00000000378C: 85458045
	ds_read_b128 v[76:79], v182 offset:4736                    // 000000003790: D9FE1280 4C0000B6
	v_mfma_scale_f32_16x16x128_f8f6f4 a[36:39], v[112:115], v[52:55], a[36:39], v174, v170 op_sel_hi:[0,0,0] cbsz:4 blgp:4// 000000003798: D3AC7000 180355AE D3AD8C24 84926970
	s_add_u32 s16, s16, s67                                    // 0000000037A8: 80104310
	s_addc_u32 s17, 0, s17                                     // 0000000037AC: 82111180
	v_mfma_scale_f32_16x16x128_f8f6f4 a[40:43], v[116:119], v[48:51], a[40:43], v174, v170 op_sel_hi:[0,0,0] cbsz:4 blgp:4// 0000000037B0: D3AC6800 180355AE D3AD8C28 84A26174
	s_sub_u32 s18, s18, s67                                    // 0000000037C0: 80924312
	ds_read_b128 v[84:87], v182 offset:4800                    // 0000000037C4: D9FE12C0 540000B6
	v_mfma_scale_f32_16x16x128_f8f6f4 a[44:47], v[116:119], v[52:55], a[44:47], v174, v170 op_sel_hi:[0,0,0] cbsz:4 blgp:4// 0000000037CC: D3AC7800 180355AE D3AD8C2C 84B26974
	s_add_u32 s24, s24, s69                                    // 0000000037DC: 80184518
	s_addc_u32 s25, 0, s25                                     // 0000000037E0: 82191980
	ds_read_b32 v172, v186 offset:1280                         // 0000000037E4: D86C0500 AC0000BA
	s_sub_u32 s26, s26, s69                                    // 0000000037EC: 809A451A
	s_addk_i32 s60, 0x100                                      // 0000000037F0: B73C0100
	s_cmp_lt_i32 s60, s61                                      // 0000000037F4: BF043D3C
	s_cbranch_scc0 label_07F7                                  // 0000000037F8: BF8404F8
	s_waitcnt vmcnt(18) lgkmcnt(5)                             // 0000000037FC: BF8C4572
	s_barrier                                                  // 000000003800: BF8A0000
	v_mfma_scale_f32_16x16x128_f8f6f4 a[0:3], v[120:123], v[56:59], a[0:3], v175, v171 op_sel_hi:[0,0,0] cbsz:4 blgp:4// 000000003804: D3AC6000 000357AF D3AD8C00 84027178
	ds_read_b128 v[88:91], v182 offset:8448                    // 000000003814: D9FE2100 580000B6
	v_mfma_scale_f32_16x16x128_f8f6f4 a[4:7], v[120:123], v[60:63], a[4:7], v175, v171 op_sel_hi:[0,0,0] cbsz:4 blgp:4// 00000000381C: D3AC7000 000357AF D3AD8C04 84127978
	s_add_u32 m0, 0, s65                                       // 00000000382C: 807C4180
	buffer_load_dword v185, s[20:23], 0 offen lds              // 000000003830: E0511000 800500B9
	v_mfma_scale_f32_16x16x128_f8f6f4 a[8:11], v[124:127], v[56:59], a[8:11], v175, v171 op_sel_hi:[0,0,0] cbsz:4 blgp:4// 000000003838: D3AC6800 000357AF D3AD8C08 8422717C
	ds_read_b128 v[96:99], v182 offset:8512                    // 000000003848: D9FE2140 600000B6
	v_mfma_scale_f32_16x16x128_f8f6f4 a[12:15], v[124:127], v[60:63], a[12:15], v175, v171 op_sel_hi:[0,0,0] cbsz:4 blgp:4// 000000003850: D3AC7800 000357AF D3AD8C0C 8432797C
	s_add_u32 m0, 0, s64                                       // 000000003860: 807C4080
	buffer_load_dwordx4 v178, s[12:15], 0 offen lds            // 000000003864: E05D1000 800300B2
	v_mfma_scale_f32_16x16x128_f8f6f4 a[0:3], v[128:131], v[64:67], a[0:3], v175, v171 op_sel_hi:[0,0,0] cbsz:4 blgp:4// 00000000386C: D3AC6000 180357AF D3AD8C00 84028180
	ds_read_b128 v[92:95], v182 offset:8960                    // 00000000387C: D9FE2300 5C0000B6
	v_mfma_scale_f32_16x16x128_f8f6f4 a[4:7], v[128:131], v[68:71], a[4:7], v175, v171 op_sel_hi:[0,0,0] cbsz:4 blgp:4// 000000003884: D3AC7000 180357AF D3AD8C04 84128980
	s_add_u32 m0, 0x1080, s64                                  // 000000003894: 807C40FF 00001080
	buffer_load_dwordx4 v179, s[12:15], 0 offen lds            // 00000000389C: E05D1000 800300B3
	v_mfma_scale_f32_16x16x128_f8f6f4 a[8:11], v[132:135], v[64:67], a[8:11], v175, v171 op_sel_hi:[0,0,0] cbsz:4 blgp:4// 0000000038A4: D3AC6800 180357AF D3AD8C08 84228184
	ds_read_b128 v[100:103], v182 offset:9024                  // 0000000038B4: D9FE2340 640000B6
	v_mfma_scale_f32_16x16x128_f8f6f4 a[12:15], v[132:135], v[68:71], a[12:15], v175, v171 op_sel_hi:[0,0,0] cbsz:4 blgp:4// 0000000038BC: D3AC7800 180357AF D3AD8C0C 84328984
	s_add_u32 m0, 0x2100, s64                                  // 0000000038CC: 807C40FF 00002100
	buffer_load_dwordx4 v180, s[12:15], 0 offen lds            // 0000000038D4: E05D1000 800300B4
	ds_read_b32 v173, v186 offset:1536                         // 0000000038DC: D86C0600 AD0000BA
	s_waitcnt vmcnt(19) lgkmcnt(5)                             // 0000000038E4: BF8C4573
	s_barrier                                                  // 0000000038E8: BF8A0000
	v_mfma_scale_f32_16x16x128_f8f6f4 a[16:19], v[120:123], v[72:75], a[16:19], v175, v172 op_sel_hi:[0,0,0] cbsz:4 blgp:4// 0000000038EC: D3AC6000 000359AF D3AD8C10 84429178
	s_add_u32 s62, 0x400, s60                                  // 0000000038FC: 803E3CFF 00000400
	ds_read_b128 v[8:11], v183                                 // 000000003904: D9FE0000 080000B7
	v_mfma_scale_f32_16x16x128_f8f6f4 a[20:23], v[120:123], v[76:79], a[20:23], v175, v172 op_sel_hi:[0,0,0] cbsz:4 blgp:4// 00000000390C: D3AC7000 000359AF D3AD8C14 84529978
	s_cmp_lt_u32 s62, s61                                      // 00000000391C: BF0A3D3E
	buffer_load_dwordx4 v[104:107], v187, s[16:19], 0 offen    // 000000003920: E05C1000 800468BB
	v_mfma_scale_f32_16x16x128_f8f6f4 a[24:27], v[124:127], v[72:75], a[24:27], v175, v172 op_sel_hi:[0,0,0] cbsz:4 blgp:4// 000000003928: D3AC2800 000359AF D3AD8C18 8462917C
	s_cselect_b32 s66, s66, 0                                  // 000000003938: 85428042
	ds_read_b128 v[16:19], v183 offset:64                      // 00000000393C: D9FE0040 100000B7
	v_mfma_scale_f32_16x16x128_f8f6f4 a[28:31], v[124:127], v[76:79], a[28:31], v175, v172 op_sel_hi:[0,0,0] cbsz:4 blgp:4// 000000003944: D3AC7800 000359AF D3AD8C1C 8472997C
	s_cselect_b32 s68, s68, 0                                  // 000000003954: 85448044
	buffer_load_dwordx4 v[108:111], v188, s[16:19], 0 offen    // 000000003958: E05C1000 80046CBC
	v_mfma_scale_f32_16x16x128_f8f6f4 a[16:19], v[128:131], v[80:83], a[16:19], v175, v172 op_sel_hi:[0,0,0] cbsz:4 blgp:4// 000000003960: D3AC6000 180359AF D3AD8C10 8442A180
	s_add_u32 s12, s12, s66                                    // 000000003970: 800C420C
	ds_read_b128 v[12:15], v183 offset:512                     // 000000003974: D9FE0200 0C0000B7
	v_mfma_scale_f32_16x16x128_f8f6f4 a[20:23], v[128:131], v[84:87], a[20:23], v175, v172 op_sel_hi:[0,0,0] cbsz:4 blgp:4// 00000000397C: D3AC7000 180359AF D3AD8C14 8452A980
	s_addc_u32 s13, 0, s13                                     // 00000000398C: 820D0D80
	buffer_load_dwordx4 v[112:115], v187, s[16:19], 0 offen offset:1024// 000000003990: E05C1400 800470BB
	v_mfma_scale_f32_16x16x128_f8f6f4 a[24:27], v[132:135], v[80:83], a[24:27], v175, v172 op_sel_hi:[0,0,0] cbsz:4 blgp:4// 000000003998: D3AC6800 180359AF D3AD8C18 8462A184
	s_sub_u32 s14, s14, s66                                    // 0000000039A8: 808E420E
	ds_read_b128 v[20:23], v183 offset:576                     // 0000000039AC: D9FE0240 140000B7
	v_mfma_scale_f32_16x16x128_f8f6f4 a[28:31], v[132:135], v[84:87], a[28:31], v175, v172 op_sel_hi:[0,0,0] cbsz:4 blgp:4// 0000000039B4: D3AC7800 180359AF D3AD8C1C 8472A984
	s_add_u32 s20, s20, s68                                    // 0000000039C4: 80144414
	buffer_load_dwordx4 v[116:119], v188, s[16:19], 0 offen offset:1024// 0000000039C8: E05C1400 800474BC
	ds_read_b32 v168, v186 offset:2048                         // 0000000039D0: D86C0800 A80000BA
	s_waitcnt lgkmcnt(5)                                       // 0000000039D8: BF8CC57F
	v_mfma_scale_f32_16x16x128_f8f6f4 a[32:35], v[120:123], v[88:91], a[32:35], v175, v173 op_sel_hi:[0,0,0] cbsz:4 blgp:4// 0000000039DC: D3AC6000 00035BAF D3AD8C20 8482B178
	s_addc_u32 s21, 0, s21                                     // 0000000039EC: 82151580
	ds_read_b128 v[24:27], v183 offset:4224                    // 0000000039F0: D9FE1080 180000B7
	v_mfma_scale_f32_16x16x128_f8f6f4 a[36:39], v[120:123], v[92:95], a[36:39], v175, v173 op_sel_hi:[0,0,0] cbsz:4 blgp:4// 0000000039F8: D3AC7000 00035BAF D3AD8C24 8492B978
	s_sub_u32 s22, s22, s68                                    // 000000003A08: 80964416
	buffer_load_dword v174, v189, s[24:27], 0 offen            // 000000003A0C: E0501000 8006AEBD
	v_mfma_scale_f32_16x16x128_f8f6f4 a[40:43], v[124:127], v[88:91], a[40:43], v175, v173 op_sel_hi:[0,0,0] cbsz:4 blgp:4// 000000003A14: D3AC6800 00035BAF D3AD8C28 84A2B17C
	s_add_u32 s63, 0x400, s60                                  // 000000003A24: 803F3CFF 00000400
	ds_read_b128 v[32:35], v183 offset:4288                    // 000000003A2C: D9FE10C0 200000B7
	v_mfma_scale_f32_16x16x128_f8f6f4 a[44:47], v[124:127], v[92:95], a[44:47], v175, v173 op_sel_hi:[0,0,0] cbsz:4 blgp:4// 000000003A34: D3AC7800 00035BAF D3AD8C2C 84B2B97C
	s_cmp_lt_u32 s63, s61                                      // 000000003A44: BF0A3D3F
	s_cselect_b32 s67, s67, 0                                  // 000000003A48: 85438043
	v_mfma_scale_f32_16x16x128_f8f6f4 a[32:35], v[128:131], v[96:99], a[32:35], v175, v173 op_sel_hi:[0,0,0] cbsz:4 blgp:4// 000000003A4C: D3AC6000 18035BAF D3AD8C20 8482C180
	s_cselect_b32 s69, s69, 0                                  // 000000003A5C: 85458045
	ds_read_b128 v[28:31], v183 offset:4736                    // 000000003A60: D9FE1280 1C0000B7
	v_mfma_scale_f32_16x16x128_f8f6f4 a[36:39], v[128:131], v[100:103], a[36:39], v175, v173 op_sel_hi:[0,0,0] cbsz:4 blgp:4// 000000003A68: D3AC7000 18035BAF D3AD8C24 8492C980
	s_add_u32 s16, s16, s67                                    // 000000003A78: 80104310
	s_addc_u32 s17, 0, s17                                     // 000000003A7C: 82111180
	v_mfma_scale_f32_16x16x128_f8f6f4 a[40:43], v[132:135], v[96:99], a[40:43], v175, v173 op_sel_hi:[0,0,0] cbsz:4 blgp:4// 000000003A80: D3AC6800 18035BAF D3AD8C28 84A2C184
	s_sub_u32 s18, s18, s67                                    // 000000003A90: 80924312
	ds_read_b128 v[36:39], v183 offset:4800                    // 000000003A94: D9FE12C0 240000B7
	v_mfma_scale_f32_16x16x128_f8f6f4 a[44:47], v[132:135], v[100:103], a[44:47], v175, v173 op_sel_hi:[0,0,0] cbsz:4 blgp:4// 000000003A9C: D3AC7800 18035BAF D3AD8C2C 84B2C984
	s_add_u32 s24, s24, s69                                    // 000000003AAC: 80184518
	s_addc_u32 s25, 0, s25                                     // 000000003AB0: 82191980
	ds_read_b32 v169, v186 offset:2304                         // 000000003AB4: D86C0900 A90000BA
	s_sub_u32 s26, s26, s69                                    // 000000003ABC: 809A451A
	s_addk_i32 s60, 0x100                                      // 000000003AC0: B73C0100
	s_cmp_lt_i32 s60, s61                                      // 000000003AC4: BF043D3C
	s_cbranch_scc0 label_07F7                                  // 000000003AC8: BF840444
	s_waitcnt vmcnt(18) lgkmcnt(5)                             // 000000003ACC: BF8C4572
	s_barrier                                                  // 000000003AD0: BF8A0000
	v_mfma_scale_f32_16x16x128_f8f6f4 a[0:3], v[136:139], v[8:11], a[0:3], v176, v168 op_sel_hi:[0,0,0] cbsz:4 blgp:4// 000000003AD4: D3AC6000 000351B0 D3AD8C00 84021188
	ds_read_b128 v[40:43], v183 offset:8448                    // 000000003AE4: D9FE2100 280000B7
	v_mfma_scale_f32_16x16x128_f8f6f4 a[4:7], v[136:139], v[12:15], a[4:7], v176, v168 op_sel_hi:[0,0,0] cbsz:4 blgp:4// 000000003AEC: D3AC7000 000351B0 D3AD8C04 84121988
	s_add_u32 m0, 0x400, s65                                   // 000000003AFC: 807C41FF 00000400
	buffer_load_dword v185, s[20:23], 0 offen lds              // 000000003B04: E0511000 800500B9
	v_mfma_scale_f32_16x16x128_f8f6f4 a[8:11], v[140:143], v[8:11], a[8:11], v176, v168 op_sel_hi:[0,0,0] cbsz:4 blgp:4// 000000003B0C: D3AC6800 000351B0 D3AD8C08 8422118C
	ds_read_b128 v[48:51], v183 offset:8512                    // 000000003B1C: D9FE2140 300000B7
	v_mfma_scale_f32_16x16x128_f8f6f4 a[12:15], v[140:143], v[12:15], a[12:15], v176, v168 op_sel_hi:[0,0,0] cbsz:4 blgp:4// 000000003B24: D3AC7800 000351B0 D3AD8C0C 8432198C
	s_add_u32 m0, 0x3180, s64                                  // 000000003B34: 807C40FF 00003180
	buffer_load_dwordx4 v178, s[12:15], 0 offen lds            // 000000003B3C: E05D1000 800300B2
	v_mfma_scale_f32_16x16x128_f8f6f4 a[0:3], v[144:147], v[16:19], a[0:3], v176, v168 op_sel_hi:[0,0,0] cbsz:4 blgp:4// 000000003B44: D3AC6000 180351B0 D3AD8C00 84022190
	ds_read_b128 v[44:47], v183 offset:8960                    // 000000003B54: D9FE2300 2C0000B7
	v_mfma_scale_f32_16x16x128_f8f6f4 a[4:7], v[144:147], v[20:23], a[4:7], v176, v168 op_sel_hi:[0,0,0] cbsz:4 blgp:4// 000000003B5C: D3AC7000 180351B0 D3AD8C04 84122990
	s_add_u32 m0, 0x4200, s64                                  // 000000003B6C: 807C40FF 00004200
	buffer_load_dwordx4 v179, s[12:15], 0 offen lds            // 000000003B74: E05D1000 800300B3
	v_mfma_scale_f32_16x16x128_f8f6f4 a[8:11], v[148:151], v[16:19], a[8:11], v176, v168 op_sel_hi:[0,0,0] cbsz:4 blgp:4// 000000003B7C: D3AC6800 180351B0 D3AD8C08 84222194
	ds_read_b128 v[52:55], v183 offset:9024                    // 000000003B8C: D9FE2340 340000B7
	v_mfma_scale_f32_16x16x128_f8f6f4 a[12:15], v[148:151], v[20:23], a[12:15], v176, v168 op_sel_hi:[0,0,0] cbsz:4 blgp:4// 000000003B94: D3AC7800 180351B0 D3AD8C0C 84322994
	s_add_u32 m0, 0x5280, s64                                  // 000000003BA4: 807C40FF 00005280
	buffer_load_dwordx4 v180, s[12:15], 0 offen lds            // 000000003BAC: E05D1000 800300B4
	ds_read_b32 v170, v186 offset:2560                         // 000000003BB4: D86C0A00 AA0000BA
	s_waitcnt vmcnt(19) lgkmcnt(5)                             // 000000003BBC: BF8C4573
	s_barrier                                                  // 000000003BC0: BF8A0000
	v_mfma_scale_f32_16x16x128_f8f6f4 a[16:19], v[136:139], v[24:27], a[16:19], v176, v169 op_sel_hi:[0,0,0] cbsz:4 blgp:4// 000000003BC4: D3AC6000 000353B0 D3AD8C10 84423188
	s_add_u32 s62, 0x400, s60                                  // 000000003BD4: 803E3CFF 00000400
	ds_read_b128 v[56:59], v184                                // 000000003BDC: D9FE0000 380000B8
	v_mfma_scale_f32_16x16x128_f8f6f4 a[20:23], v[136:139], v[28:31], a[20:23], v176, v169 op_sel_hi:[0,0,0] cbsz:4 blgp:4// 000000003BE4: D3AC7000 000353B0 D3AD8C14 84523988
	s_cmp_lt_u32 s62, s61                                      // 000000003BF4: BF0A3D3E
	buffer_load_dwordx4 v[120:123], v187, s[16:19], 0 offen    // 000000003BF8: E05C1000 800478BB
	v_mfma_scale_f32_16x16x128_f8f6f4 a[24:27], v[140:143], v[24:27], a[24:27], v176, v169 op_sel_hi:[0,0,0] cbsz:4 blgp:4// 000000003C00: D3AC4800 000353B0 D3AD8C18 8462318C
	s_cselect_b32 s66, s66, 0                                  // 000000003C10: 85428042
	ds_read_b128 v[64:67], v184 offset:64                      // 000000003C14: D9FE0040 400000B8
	v_mfma_scale_f32_16x16x128_f8f6f4 a[28:31], v[140:143], v[28:31], a[28:31], v176, v169 op_sel_hi:[0,0,0] cbsz:4 blgp:4// 000000003C1C: D3AC7800 000353B0 D3AD8C1C 8472398C
	s_cselect_b32 s68, s68, 0                                  // 000000003C2C: 85448044
	buffer_load_dwordx4 v[124:127], v188, s[16:19], 0 offen    // 000000003C30: E05C1000 80047CBC
	v_mfma_scale_f32_16x16x128_f8f6f4 a[16:19], v[144:147], v[32:35], a[16:19], v176, v169 op_sel_hi:[0,0,0] cbsz:4 blgp:4// 000000003C38: D3AC4000 180353B0 D3AD8C10 84424190
	s_add_u32 s12, s12, s66                                    // 000000003C48: 800C420C
	ds_read_b128 v[60:63], v184 offset:512                     // 000000003C4C: D9FE0200 3C0000B8
	v_mfma_scale_f32_16x16x128_f8f6f4 a[20:23], v[144:147], v[36:39], a[20:23], v176, v169 op_sel_hi:[0,0,0] cbsz:4 blgp:4// 000000003C54: D3AC7000 180353B0 D3AD8C14 84524990
	s_addc_u32 s13, 0, s13                                     // 000000003C64: 820D0D80
	buffer_load_dwordx4 v[128:131], v187, s[16:19], 0 offen offset:1024// 000000003C68: E05C1400 800480BB
	v_mfma_scale_f32_16x16x128_f8f6f4 a[24:27], v[148:151], v[32:35], a[24:27], v176, v169 op_sel_hi:[0,0,0] cbsz:4 blgp:4// 000000003C70: D3AC4800 180353B0 D3AD8C18 84624194
	s_sub_u32 s14, s14, s66                                    // 000000003C80: 808E420E
	ds_read_b128 v[68:71], v184 offset:576                     // 000000003C84: D9FE0240 440000B8
	v_mfma_scale_f32_16x16x128_f8f6f4 a[28:31], v[148:151], v[36:39], a[28:31], v176, v169 op_sel_hi:[0,0,0] cbsz:4 blgp:4// 000000003C8C: D3AC7800 180353B0 D3AD8C1C 84724994
	s_add_u32 s20, s20, s68                                    // 000000003C9C: 80144414
	buffer_load_dwordx4 v[132:135], v188, s[16:19], 0 offen offset:1024// 000000003CA0: E05C1400 800484BC
	ds_read_b32 v171, v186 offset:3072                         // 000000003CA8: D86C0C00 AB0000BA
	s_waitcnt lgkmcnt(5)                                       // 000000003CB0: BF8CC57F
	v_mfma_scale_f32_16x16x128_f8f6f4 a[32:35], v[136:139], v[40:43], a[32:35], v176, v170 op_sel_hi:[0,0,0] cbsz:4 blgp:4// 000000003CB4: D3AC6000 000355B0 D3AD8C20 84825188
	s_addc_u32 s21, 0, s21                                     // 000000003CC4: 82151580
	ds_read_b128 v[72:75], v184 offset:4224                    // 000000003CC8: D9FE1080 480000B8
	v_mfma_scale_f32_16x16x128_f8f6f4 a[36:39], v[136:139], v[44:47], a[36:39], v176, v170 op_sel_hi:[0,0,0] cbsz:4 blgp:4// 000000003CD0: D3AC7000 000355B0 D3AD8C24 84925988
	s_sub_u32 s22, s22, s68                                    // 000000003CE0: 80964416
	buffer_load_dword v175, v189, s[24:27], 0 offen            // 000000003CE4: E0501000 8006AFBD
	v_mfma_scale_f32_16x16x128_f8f6f4 a[40:43], v[140:143], v[40:43], a[40:43], v176, v170 op_sel_hi:[0,0,0] cbsz:4 blgp:4// 000000003CEC: D3AC6800 000355B0 D3AD8C28 84A2518C
	s_add_u32 s63, 0x400, s60                                  // 000000003CFC: 803F3CFF 00000400
	ds_read_b128 v[80:83], v184 offset:4288                    // 000000003D04: D9FE10C0 500000B8
	v_mfma_scale_f32_16x16x128_f8f6f4 a[44:47], v[140:143], v[44:47], a[44:47], v176, v170 op_sel_hi:[0,0,0] cbsz:4 blgp:4// 000000003D0C: D3AC7800 000355B0 D3AD8C2C 84B2598C
	s_cmp_lt_u32 s63, s61                                      // 000000003D1C: BF0A3D3F
	s_cselect_b32 s67, s67, 0                                  // 000000003D20: 85438043
	v_mfma_scale_f32_16x16x128_f8f6f4 a[32:35], v[144:147], v[48:51], a[32:35], v176, v170 op_sel_hi:[0,0,0] cbsz:4 blgp:4// 000000003D24: D3AC6000 180355B0 D3AD8C20 84826190
	s_cselect_b32 s69, s69, 0                                  // 000000003D34: 85458045
	ds_read_b128 v[76:79], v184 offset:4736                    // 000000003D38: D9FE1280 4C0000B8
	v_mfma_scale_f32_16x16x128_f8f6f4 a[36:39], v[144:147], v[52:55], a[36:39], v176, v170 op_sel_hi:[0,0,0] cbsz:4 blgp:4// 000000003D40: D3AC7000 180355B0 D3AD8C24 84926990
	s_add_u32 s16, s16, s67                                    // 000000003D50: 80104310
	s_addc_u32 s17, 0, s17                                     // 000000003D54: 82111180
	v_mfma_scale_f32_16x16x128_f8f6f4 a[40:43], v[148:151], v[48:51], a[40:43], v176, v170 op_sel_hi:[0,0,0] cbsz:4 blgp:4// 000000003D58: D3AC4800 180355B0 D3AD8C28 84A26194
	s_sub_u32 s18, s18, s67                                    // 000000003D68: 80924312
	ds_read_b128 v[84:87], v184 offset:4800                    // 000000003D6C: D9FE12C0 540000B8
	v_mfma_scale_f32_16x16x128_f8f6f4 a[44:47], v[148:151], v[52:55], a[44:47], v176, v170 op_sel_hi:[0,0,0] cbsz:4 blgp:4// 000000003D74: D3AC7800 180355B0 D3AD8C2C 84B26994
	s_add_u32 s24, s24, s69                                    // 000000003D84: 80184518
	s_addc_u32 s25, 0, s25                                     // 000000003D88: 82191980
	ds_read_b32 v172, v186 offset:3328                         // 000000003D8C: D86C0D00 AC0000BA
	s_sub_u32 s26, s26, s69                                    // 000000003D94: 809A451A
	s_addk_i32 s60, 0x100                                      // 000000003D98: B73C0100
	s_cmp_lt_i32 s60, s61                                      // 000000003D9C: BF043D3C
	s_cbranch_scc0 label_07F7                                  // 000000003DA0: BF84038E
	s_waitcnt vmcnt(18) lgkmcnt(5)                             // 000000003DA4: BF8C4572
	s_barrier                                                  // 000000003DA8: BF8A0000
	v_mfma_scale_f32_16x16x128_f8f6f4 a[0:3], v[152:155], v[56:59], a[0:3], v177, v171 op_sel_hi:[0,0,0] cbsz:4 blgp:4// 000000003DAC: D3AC6000 000357B1 D3AD8C00 84027198
	ds_read_b128 v[88:91], v184 offset:8448                    // 000000003DBC: D9FE2100 580000B8
	v_mfma_scale_f32_16x16x128_f8f6f4 a[4:7], v[152:155], v[60:63], a[4:7], v177, v171 op_sel_hi:[0,0,0] cbsz:4 blgp:4// 000000003DC4: D3AC7000 000357B1 D3AD8C04 84127998
	s_add_u32 m0, 0x800, s65                                   // 000000003DD4: 807C41FF 00000800
	buffer_load_dword v185, s[20:23], 0 offen lds              // 000000003DDC: E0511000 800500B9
	v_mfma_scale_f32_16x16x128_f8f6f4 a[8:11], v[156:159], v[56:59], a[8:11], v177, v171 op_sel_hi:[0,0,0] cbsz:4 blgp:4// 000000003DE4: D3AC6800 000357B1 D3AD8C08 8422719C
	ds_read_b128 v[96:99], v184 offset:8512                    // 000000003DF4: D9FE2140 600000B8
	v_mfma_scale_f32_16x16x128_f8f6f4 a[12:15], v[156:159], v[60:63], a[12:15], v177, v171 op_sel_hi:[0,0,0] cbsz:4 blgp:4// 000000003DFC: D3AC7800 000357B1 D3AD8C0C 8432799C
	s_add_u32 m0, 0x6300, s64                                  // 000000003E0C: 807C40FF 00006300
	buffer_load_dwordx4 v178, s[12:15], 0 offen lds            // 000000003E14: E05D1000 800300B2
	v_mfma_scale_f32_16x16x128_f8f6f4 a[0:3], v[160:163], v[64:67], a[0:3], v177, v171 op_sel_hi:[0,0,0] cbsz:4 blgp:4// 000000003E1C: D3AC6000 180357B1 D3AD8C00 840281A0
	ds_read_b128 v[92:95], v184 offset:8960                    // 000000003E2C: D9FE2300 5C0000B8
	v_mfma_scale_f32_16x16x128_f8f6f4 a[4:7], v[160:163], v[68:71], a[4:7], v177, v171 op_sel_hi:[0,0,0] cbsz:4 blgp:4// 000000003E34: D3AC7000 180357B1 D3AD8C04 841289A0
	s_add_u32 m0, 0x7380, s64                                  // 000000003E44: 807C40FF 00007380
	buffer_load_dwordx4 v179, s[12:15], 0 offen lds            // 000000003E4C: E05D1000 800300B3
	v_mfma_scale_f32_16x16x128_f8f6f4 a[8:11], v[164:167], v[64:67], a[8:11], v177, v171 op_sel_hi:[0,0,0] cbsz:4 blgp:4// 000000003E54: D3AC6800 180357B1 D3AD8C08 842281A4
	ds_read_b128 v[100:103], v184 offset:9024                  // 000000003E64: D9FE2340 640000B8
	v_mfma_scale_f32_16x16x128_f8f6f4 a[12:15], v[164:167], v[68:71], a[12:15], v177, v171 op_sel_hi:[0,0,0] cbsz:4 blgp:4// 000000003E6C: D3AC7800 180357B1 D3AD8C0C 843289A4
	s_add_u32 m0, 0x8400, s64                                  // 000000003E7C: 807C40FF 00008400
	buffer_load_dwordx4 v180, s[12:15], 0 offen lds            // 000000003E84: E05D1000 800300B4
	ds_read_b32 v173, v186 offset:3584                         // 000000003E8C: D86C0E00 AD0000BA
	s_waitcnt vmcnt(19) lgkmcnt(5)                             // 000000003E94: BF8C4573
	s_barrier                                                  // 000000003E98: BF8A0000
	v_mfma_scale_f32_16x16x128_f8f6f4 a[16:19], v[152:155], v[72:75], a[16:19], v177, v172 op_sel_hi:[0,0,0] cbsz:4 blgp:4// 000000003E9C: D3AC6000 000359B1 D3AD8C10 84429198
	s_add_u32 s62, 0x400, s60                                  // 000000003EAC: 803E3CFF 00000400
	ds_read_b128 v[8:11], v181                                 // 000000003EB4: D9FE0000 080000B5
	v_mfma_scale_f32_16x16x128_f8f6f4 a[20:23], v[152:155], v[76:79], a[20:23], v177, v172 op_sel_hi:[0,0,0] cbsz:4 blgp:4// 000000003EBC: D3AC7000 000359B1 D3AD8C14 84529998
	s_cmp_lt_u32 s62, s61                                      // 000000003ECC: BF0A3D3E
	buffer_load_dwordx4 v[136:139], v187, s[16:19], 0 offen    // 000000003ED0: E05C1000 800488BB
	v_mfma_scale_f32_16x16x128_f8f6f4 a[24:27], v[156:159], v[72:75], a[24:27], v177, v172 op_sel_hi:[0,0,0] cbsz:4 blgp:4// 000000003ED8: D3AC6800 000359B1 D3AD8C18 8462919C
	s_cselect_b32 s66, s66, 0                                  // 000000003EE8: 85428042
	ds_read_b128 v[16:19], v181 offset:64                      // 000000003EEC: D9FE0040 100000B5
	v_mfma_scale_f32_16x16x128_f8f6f4 a[28:31], v[156:159], v[76:79], a[28:31], v177, v172 op_sel_hi:[0,0,0] cbsz:4 blgp:4// 000000003EF4: D3AC7800 000359B1 D3AD8C1C 8472999C
	s_cselect_b32 s68, s68, 0                                  // 000000003F04: 85448044
	buffer_load_dwordx4 v[140:143], v188, s[16:19], 0 offen    // 000000003F08: E05C1000 80048CBC
	v_mfma_scale_f32_16x16x128_f8f6f4 a[16:19], v[160:163], v[80:83], a[16:19], v177, v172 op_sel_hi:[0,0,0] cbsz:4 blgp:4// 000000003F10: D3AC6000 180359B1 D3AD8C10 8442A1A0
	s_add_u32 s12, s12, s66                                    // 000000003F20: 800C420C
	ds_read_b128 v[12:15], v181 offset:512                     // 000000003F24: D9FE0200 0C0000B5
	v_mfma_scale_f32_16x16x128_f8f6f4 a[20:23], v[160:163], v[84:87], a[20:23], v177, v172 op_sel_hi:[0,0,0] cbsz:4 blgp:4// 000000003F2C: D3AC7000 180359B1 D3AD8C14 8452A9A0
	s_addc_u32 s13, 0, s13                                     // 000000003F3C: 820D0D80
	buffer_load_dwordx4 v[144:147], v187, s[16:19], 0 offen offset:1024// 000000003F40: E05C1400 800490BB
	v_mfma_scale_f32_16x16x128_f8f6f4 a[24:27], v[164:167], v[80:83], a[24:27], v177, v172 op_sel_hi:[0,0,0] cbsz:4 blgp:4// 000000003F48: D3AC6800 180359B1 D3AD8C18 8462A1A4
	s_sub_u32 s14, s14, s66                                    // 000000003F58: 808E420E
	ds_read_b128 v[20:23], v181 offset:576                     // 000000003F5C: D9FE0240 140000B5
	v_mfma_scale_f32_16x16x128_f8f6f4 a[28:31], v[164:167], v[84:87], a[28:31], v177, v172 op_sel_hi:[0,0,0] cbsz:4 blgp:4// 000000003F64: D3AC7800 180359B1 D3AD8C1C 8472A9A4
	s_add_u32 s20, s20, s68                                    // 000000003F74: 80144414
	buffer_load_dwordx4 v[148:151], v188, s[16:19], 0 offen offset:1024// 000000003F78: E05C1400 800494BC
	ds_read_b32 v168, v186                                     // 000000003F80: D86C0000 A80000BA
	s_waitcnt lgkmcnt(5)                                       // 000000003F88: BF8CC57F
	v_mfma_scale_f32_16x16x128_f8f6f4 a[32:35], v[152:155], v[88:91], a[32:35], v177, v173 op_sel_hi:[0,0,0] cbsz:4 blgp:4// 000000003F8C: D3AC6000 00035BB1 D3AD8C20 8482B198
	s_addc_u32 s21, 0, s21                                     // 000000003F9C: 82151580
	ds_read_b128 v[24:27], v181 offset:4224                    // 000000003FA0: D9FE1080 180000B5
	v_mfma_scale_f32_16x16x128_f8f6f4 a[36:39], v[152:155], v[92:95], a[36:39], v177, v173 op_sel_hi:[0,0,0] cbsz:4 blgp:4// 000000003FA8: D3AC7000 00035BB1 D3AD8C24 8492B998
	s_sub_u32 s22, s22, s68                                    // 000000003FB8: 80964416
	buffer_load_dword v176, v189, s[24:27], 0 offen            // 000000003FBC: E0501000 8006B0BD
	v_mfma_scale_f32_16x16x128_f8f6f4 a[40:43], v[156:159], v[88:91], a[40:43], v177, v173 op_sel_hi:[0,0,0] cbsz:4 blgp:4// 000000003FC4: D3AC6800 00035BB1 D3AD8C28 84A2B19C
	s_add_u32 s63, 0x400, s60                                  // 000000003FD4: 803F3CFF 00000400
	ds_read_b128 v[32:35], v181 offset:4288                    // 000000003FDC: D9FE10C0 200000B5
	v_mfma_scale_f32_16x16x128_f8f6f4 a[44:47], v[156:159], v[92:95], a[44:47], v177, v173 op_sel_hi:[0,0,0] cbsz:4 blgp:4// 000000003FE4: D3AC5800 00035BB1 D3AD8C2C 84B2B99C
	s_cmp_lt_u32 s63, s61                                      // 000000003FF4: BF0A3D3F
	s_cselect_b32 s67, s67, 0                                  // 000000003FF8: 85438043
	v_mfma_scale_f32_16x16x128_f8f6f4 a[32:35], v[160:163], v[96:99], a[32:35], v177, v173 op_sel_hi:[0,0,0] cbsz:4 blgp:4// 000000003FFC: D3AC6000 18035BB1 D3AD8C20 8482C1A0
	s_cselect_b32 s69, s69, 0                                  // 00000000400C: 85458045
	ds_read_b128 v[28:31], v181 offset:4736                    // 000000004010: D9FE1280 1C0000B5
	v_mfma_scale_f32_16x16x128_f8f6f4 a[36:39], v[160:163], v[100:103], a[36:39], v177, v173 op_sel_hi:[0,0,0] cbsz:4 blgp:4// 000000004018: D3AC7000 18035BB1 D3AD8C24 8492C9A0
	s_add_u32 s16, s16, s67                                    // 000000004028: 80104310
	s_addc_u32 s17, 0, s17                                     // 00000000402C: 82111180
	v_mfma_scale_f32_16x16x128_f8f6f4 a[40:43], v[164:167], v[96:99], a[40:43], v177, v173 op_sel_hi:[0,0,0] cbsz:4 blgp:4// 000000004030: D3AC6800 18035BB1 D3AD8C28 84A2C1A4
	s_sub_u32 s18, s18, s67                                    // 000000004040: 80924312
	ds_read_b128 v[36:39], v181 offset:4800                    // 000000004044: D9FE12C0 240000B5
	v_mfma_scale_f32_16x16x128_f8f6f4 a[44:47], v[164:167], v[100:103], a[44:47], v177, v173 op_sel_hi:[0,0,0] cbsz:4 blgp:4// 00000000404C: D3AC7800 18035BB1 D3AD8C2C 84B2C9A4
	s_add_u32 s24, s24, s69                                    // 00000000405C: 80184518
	s_addc_u32 s25, 0, s25                                     // 000000004060: 82191980
	ds_read_b32 v169, v186 offset:256                          // 000000004064: D86C0100 A90000BA
	s_sub_u32 s26, s26, s69                                    // 00000000406C: 809A451A
	s_addk_i32 s60, 0x100                                      // 000000004070: B73C0100
	s_cmp_lt_i32 s60, s61                                      // 000000004074: BF043D3C
	s_cbranch_scc0 label_07F7                                  // 000000004078: BF8402D8
	s_branch label_0249                                        // 00000000407C: BF82FD29

0000000000004080 <label_0520>:
	s_waitcnt vmcnt(18) lgkmcnt(5)                             // 000000004080: BF8C4572
	s_barrier                                                  // 000000004084: BF8A0000
	v_mfma_scale_f32_16x16x128_f8f6f4 a[0:3], v[104:107], v[8:11], a[0:3], v174, v168 op_sel_hi:[0,0,0] cbsz:4 blgp:4// 000000004088: D3AC6000 000351AE D3AD8C00 84021168
	s_add_u32 m0, 0xc00, s65                                   // 000000004098: 807C41FF 00000C00
	buffer_load_dword v185, s[20:23], 0 offen lds              // 0000000040A0: E0511000 800500B9
	v_mfma_scale_f32_16x16x128_f8f6f4 a[4:7], v[104:107], v[12:15], a[4:7], v174, v168 op_sel_hi:[0,0,0] cbsz:4 blgp:4// 0000000040A8: D3AC7000 000351AE D3AD8C04 84121968
	ds_read_b128 v[40:43], v181 offset:8448                    // 0000000040B8: D9FE2100 280000B5
	v_mfma_scale_f32_16x16x128_f8f6f4 a[8:11], v[108:111], v[8:11], a[8:11], v174, v168 op_sel_hi:[0,0,0] cbsz:4 blgp:4// 0000000040C0: D3AC6800 000351AE D3AD8C08 8422116C
	s_add_u32 m0, 0x9480, s64                                  // 0000000040D0: 807C40FF 00009480
	buffer_load_dwordx4 v178, s[12:15], 0 offen lds            // 0000000040D8: E05D1000 800300B2
	v_mfma_scale_f32_16x16x128_f8f6f4 a[12:15], v[108:111], v[12:15], a[12:15], v174, v168 op_sel_hi:[0,0,0] cbsz:4 blgp:4// 0000000040E0: D3AC7800 000351AE D3AD8C0C 8432196C
	ds_read_b128 v[48:51], v181 offset:8512                    // 0000000040F0: D9FE2140 300000B5
	v_mfma_scale_f32_16x16x128_f8f6f4 a[0:3], v[112:115], v[16:19], a[0:3], v174, v168 op_sel_hi:[0,0,0] cbsz:4 blgp:4// 0000000040F8: D3AC6000 180351AE D3AD8C00 84022170
	s_add_u32 m0, 0xa500, s64                                  // 000000004108: 807C40FF 0000A500
	buffer_load_dwordx4 v179, s[12:15], 0 offen lds            // 000000004110: E05D1000 800300B3
	v_mfma_scale_f32_16x16x128_f8f6f4 a[4:7], v[112:115], v[20:23], a[4:7], v174, v168 op_sel_hi:[0,0,0] cbsz:4 blgp:4// 000000004118: D3AC7000 180351AE D3AD8C04 84122970
	ds_read_b128 v[44:47], v181 offset:8960                    // 000000004128: D9FE2300 2C0000B5
	v_mfma_scale_f32_16x16x128_f8f6f4 a[8:11], v[116:119], v[16:19], a[8:11], v174, v168 op_sel_hi:[0,0,0] cbsz:4 blgp:4// 000000004130: D3AC6800 180351AE D3AD8C08 84222174
	s_add_u32 m0, 0xb580, s64                                  // 000000004140: 807C40FF 0000B580
	buffer_load_dwordx4 v180, s[12:15], 0 offen lds            // 000000004148: E05D1000 800300B4
	v_mfma_scale_f32_16x16x128_f8f6f4 a[12:15], v[116:119], v[20:23], a[12:15], v174, v168 op_sel_hi:[0,0,0] cbsz:4 blgp:4// 000000004150: D3AC7800 180351AE D3AD8C0C 84322974
	s_add_u32 s62, 0x400, s60                                  // 000000004160: 803E3CFF 00000400
	ds_read_b128 v[52:55], v181 offset:9024                    // 000000004168: D9FE2340 340000B5
	ds_read_b32 v170, v186 offset:512                          // 000000004170: D86C0200 AA0000BA
	s_waitcnt vmcnt(19) lgkmcnt(5)                             // 000000004178: BF8C4573
	s_barrier                                                  // 00000000417C: BF8A0000
	v_mfma_scale_f32_16x16x128_f8f6f4 a[16:19], v[104:107], v[24:27], a[16:19], v174, v169 op_sel_hi:[0,0,0] cbsz:4 blgp:4// 000000004180: D3AC6000 000353AE D3AD8C10 84423168
	s_cmp_lt_u32 s62, s61                                      // 000000004190: BF0A3D3E
	buffer_load_dwordx4 v[152:155], v187, s[16:19], 0 offen    // 000000004194: E05C1000 800498BB
	v_mfma_scale_f32_16x16x128_f8f6f4 a[20:23], v[104:107], v[28:31], a[20:23], v174, v169 op_sel_hi:[0,0,0] cbsz:4 blgp:4// 00000000419C: D3AC7000 000353AE D3AD8C14 84523968
	s_cselect_b32 s66, s66, 0                                  // 0000000041AC: 85428042
	ds_read_b128 v[56:59], v182                                // 0000000041B0: D9FE0000 380000B6
	v_mfma_scale_f32_16x16x128_f8f6f4 a[24:27], v[108:111], v[24:27], a[24:27], v174, v169 op_sel_hi:[0,0,0] cbsz:4 blgp:4// 0000000041B8: D3AC6800 000353AE D3AD8C18 8462316C
	s_cselect_b32 s68, s68, 0                                  // 0000000041C8: 85448044
	buffer_load_dwordx4 v[156:159], v188, s[16:19], 0 offen    // 0000000041CC: E05C1000 80049CBC
	v_mfma_scale_f32_16x16x128_f8f6f4 a[28:31], v[108:111], v[28:31], a[28:31], v174, v169 op_sel_hi:[0,0,0] cbsz:4 blgp:4// 0000000041D4: D3AC7800 000353AE D3AD8C1C 8472396C
	s_add_u32 s12, s12, s66                                    // 0000000041E4: 800C420C
	ds_read_b128 v[64:67], v182 offset:64                      // 0000000041E8: D9FE0040 400000B6
	v_mfma_scale_f32_16x16x128_f8f6f4 a[16:19], v[112:115], v[32:35], a[16:19], v174, v169 op_sel_hi:[0,0,0] cbsz:4 blgp:4// 0000000041F0: D3AC6000 180353AE D3AD8C10 84424170
	s_addc_u32 s13, 0, s13                                     // 000000004200: 820D0D80
	buffer_load_dwordx4 v[160:163], v187, s[16:19], 0 offen offset:1024// 000000004204: E05C1400 8004A0BB
	v_mfma_scale_f32_16x16x128_f8f6f4 a[20:23], v[112:115], v[36:39], a[20:23], v174, v169 op_sel_hi:[0,0,0] cbsz:4 blgp:4// 00000000420C: D3AC7000 180353AE D3AD8C14 84524970
	s_sub_u32 s14, s14, s66                                    // 00000000421C: 808E420E
	ds_read_b128 v[60:63], v182 offset:512                     // 000000004220: D9FE0200 3C0000B6
	v_mfma_scale_f32_16x16x128_f8f6f4 a[24:27], v[116:119], v[32:35], a[24:27], v174, v169 op_sel_hi:[0,0,0] cbsz:4 blgp:4// 000000004228: D3AC6800 180353AE D3AD8C18 84624174
	s_add_u32 s20, s20, s68                                    // 000000004238: 80144414
	buffer_load_dwordx4 v[164:167], v188, s[16:19], 0 offen offset:1024// 00000000423C: E05C1400 8004A4BC
	v_mfma_scale_f32_16x16x128_f8f6f4 a[28:31], v[116:119], v[36:39], a[28:31], v174, v169 op_sel_hi:[0,0,0] cbsz:4 blgp:4// 000000004244: D3AC7800 180353AE D3AD8C1C 84724974
	s_addc_u32 s21, 0, s21                                     // 000000004254: 82151580
	ds_read_b128 v[68:71], v182 offset:576                     // 000000004258: D9FE0240 440000B6
	ds_read_b32 v171, v186 offset:1024                         // 000000004260: D86C0400 AB0000BA
	s_waitcnt lgkmcnt(5)                                       // 000000004268: BF8CC57F
	v_mfma_scale_f32_16x16x128_f8f6f4 a[32:35], v[104:107], v[40:43], a[32:35], v174, v170 op_sel_hi:[0,0,0] cbsz:4 blgp:4// 00000000426C: D3AC6000 000355AE D3AD8C20 84825168
	s_sub_u32 s22, s22, s68                                    // 00000000427C: 80964416
	buffer_load_dword v177, v189, s[24:27], 0 offen            // 000000004280: E0501000 8006B1BD
	v_mfma_scale_f32_16x16x128_f8f6f4 a[36:39], v[104:107], v[44:47], a[36:39], v174, v170 op_sel_hi:[0,0,0] cbsz:4 blgp:4// 000000004288: D3AC7000 000355AE D3AD8C24 84925968
	s_add_u32 s63, 0x400, s60                                  // 000000004298: 803F3CFF 00000400
	ds_read_b128 v[72:75], v182 offset:4224                    // 0000000042A0: D9FE1080 480000B6
	v_mfma_scale_f32_16x16x128_f8f6f4 a[40:43], v[108:111], v[40:43], a[40:43], v174, v170 op_sel_hi:[0,0,0] cbsz:4 blgp:4// 0000000042A8: D3AC6800 000355AE D3AD8C28 84A2516C
	s_cmp_lt_u32 s63, s61                                      // 0000000042B8: BF0A3D3F
	s_cselect_b32 s67, s67, 0                                  // 0000000042BC: 85438043
	v_mfma_scale_f32_16x16x128_f8f6f4 a[44:47], v[108:111], v[44:47], a[44:47], v174, v170 op_sel_hi:[0,0,0] cbsz:4 blgp:4// 0000000042C0: D3AC7800 000355AE D3AD8C2C 84B2596C
	s_cselect_b32 s69, s69, 0                                  // 0000000042D0: 85458045
	ds_read_b128 v[80:83], v182 offset:4288                    // 0000000042D4: D9FE10C0 500000B6
	v_mfma_scale_f32_16x16x128_f8f6f4 a[32:35], v[112:115], v[48:51], a[32:35], v174, v170 op_sel_hi:[0,0,0] cbsz:4 blgp:4// 0000000042DC: D3AC6000 180355AE D3AD8C20 84826170
	s_add_u32 s16, s16, s67                                    // 0000000042EC: 80104310
	s_addc_u32 s17, 0, s17                                     // 0000000042F0: 82111180
	v_mfma_scale_f32_16x16x128_f8f6f4 a[36:39], v[112:115], v[52:55], a[36:39], v174, v170 op_sel_hi:[0,0,0] cbsz:4 blgp:4// 0000000042F4: D3AC7000 180355AE D3AD8C24 84926970
	s_sub_u32 s18, s18, s67                                    // 000000004304: 80924312
	ds_read_b128 v[76:79], v182 offset:4736                    // 000000004308: D9FE1280 4C0000B6
	v_mfma_scale_f32_16x16x128_f8f6f4 a[40:43], v[116:119], v[48:51], a[40:43], v174, v170 op_sel_hi:[0,0,0] cbsz:4 blgp:4// 000000004310: D3AC6800 180355AE D3AD8C28 84A26174
	s_add_u32 s24, s24, s69                                    // 000000004320: 80184518
	s_addc_u32 s25, 0, s25                                     // 000000004324: 82191980
	v_mfma_scale_f32_16x16x128_f8f6f4 a[44:47], v[116:119], v[52:55], a[44:47], v174, v170 op_sel_hi:[0,0,0] cbsz:4 blgp:4// 000000004328: D3AC7800 180355AE D3AD8C2C 84B26974
	s_sub_u32 s26, s26, s69                                    // 000000004338: 809A451A
	ds_read_b128 v[84:87], v182 offset:4800                    // 00000000433C: D9FE12C0 540000B6
	ds_read_b32 v172, v186 offset:1280                         // 000000004344: D86C0500 AC0000BA
	s_addk_i32 s60, 0x100                                      // 00000000434C: B73C0100
	s_cmp_lt_i32 s60, s61                                      // 000000004350: BF043D3C
	s_cbranch_scc0 label_07F7                                  // 000000004354: BF840221
	s_waitcnt vmcnt(18) lgkmcnt(5)                             // 000000004358: BF8C4572
	s_barrier                                                  // 00000000435C: BF8A0000
	v_mfma_scale_f32_16x16x128_f8f6f4 a[0:3], v[120:123], v[56:59], a[0:3], v175, v171 op_sel_hi:[0,0,0] cbsz:4 blgp:4// 000000004360: D3AC6000 000357AF D3AD8C00 84027178
	s_add_u32 m0, 0, s65                                       // 000000004370: 807C4180
	buffer_load_dword v185, s[20:23], 0 offen lds              // 000000004374: E0511000 800500B9
	v_mfma_scale_f32_16x16x128_f8f6f4 a[4:7], v[120:123], v[60:63], a[4:7], v175, v171 op_sel_hi:[0,0,0] cbsz:4 blgp:4// 00000000437C: D3AC7000 000357AF D3AD8C04 84127978
	ds_read_b128 v[88:91], v182 offset:8448                    // 00000000438C: D9FE2100 580000B6
	v_mfma_scale_f32_16x16x128_f8f6f4 a[8:11], v[124:127], v[56:59], a[8:11], v175, v171 op_sel_hi:[0,0,0] cbsz:4 blgp:4// 000000004394: D3AC6800 000357AF D3AD8C08 8422717C
	s_add_u32 m0, 0, s64                                       // 0000000043A4: 807C4080
	buffer_load_dwordx4 v178, s[12:15], 0 offen lds            // 0000000043A8: E05D1000 800300B2
	v_mfma_scale_f32_16x16x128_f8f6f4 a[12:15], v[124:127], v[60:63], a[12:15], v175, v171 op_sel_hi:[0,0,0] cbsz:4 blgp:4// 0000000043B0: D3AC7800 000357AF D3AD8C0C 8432797C
	ds_read_b128 v[96:99], v182 offset:8512                    // 0000000043C0: D9FE2140 600000B6
	v_mfma_scale_f32_16x16x128_f8f6f4 a[0:3], v[128:131], v[64:67], a[0:3], v175, v171 op_sel_hi:[0,0,0] cbsz:4 blgp:4// 0000000043C8: D3AC6000 180357AF D3AD8C00 84028180
	s_add_u32 m0, 0x1080, s64                                  // 0000000043D8: 807C40FF 00001080
	buffer_load_dwordx4 v179, s[12:15], 0 offen lds            // 0000000043E0: E05D1000 800300B3
	v_mfma_scale_f32_16x16x128_f8f6f4 a[4:7], v[128:131], v[68:71], a[4:7], v175, v171 op_sel_hi:[0,0,0] cbsz:4 blgp:4// 0000000043E8: D3AC7000 180357AF D3AD8C04 84128980
	ds_read_b128 v[92:95], v182 offset:8960                    // 0000000043F8: D9FE2300 5C0000B6
	v_mfma_scale_f32_16x16x128_f8f6f4 a[8:11], v[132:135], v[64:67], a[8:11], v175, v171 op_sel_hi:[0,0,0] cbsz:4 blgp:4// 000000004400: D3AC6800 180357AF D3AD8C08 84228184
	s_add_u32 m0, 0x2100, s64                                  // 000000004410: 807C40FF 00002100
	buffer_load_dwordx4 v180, s[12:15], 0 offen lds            // 000000004418: E05D1000 800300B4
	v_mfma_scale_f32_16x16x128_f8f6f4 a[12:15], v[132:135], v[68:71], a[12:15], v175, v171 op_sel_hi:[0,0,0] cbsz:4 blgp:4// 000000004420: D3AC7800 180357AF D3AD8C0C 84328984
	s_add_u32 s62, 0x400, s60                                  // 000000004430: 803E3CFF 00000400
	ds_read_b128 v[100:103], v182 offset:9024                  // 000000004438: D9FE2340 640000B6
	ds_read_b32 v173, v186 offset:1536                         // 000000004440: D86C0600 AD0000BA
	s_waitcnt vmcnt(19) lgkmcnt(5)                             // 000000004448: BF8C4573
	s_barrier                                                  // 00000000444C: BF8A0000
	v_mfma_scale_f32_16x16x128_f8f6f4 a[16:19], v[120:123], v[72:75], a[16:19], v175, v172 op_sel_hi:[0,0,0] cbsz:4 blgp:4// 000000004450: D3AC6000 000359AF D3AD8C10 84429178
	s_cmp_lt_u32 s62, s61                                      // 000000004460: BF0A3D3E
	buffer_load_dwordx4 v[104:107], v187, s[16:19], 0 offen    // 000000004464: E05C1000 800468BB
	v_mfma_scale_f32_16x16x128_f8f6f4 a[20:23], v[120:123], v[76:79], a[20:23], v175, v172 op_sel_hi:[0,0,0] cbsz:4 blgp:4// 00000000446C: D3AC7000 000359AF D3AD8C14 84529978
	s_cselect_b32 s66, s66, 0                                  // 00000000447C: 85428042
	ds_read_b128 v[8:11], v183                                 // 000000004480: D9FE0000 080000B7
	v_mfma_scale_f32_16x16x128_f8f6f4 a[24:27], v[124:127], v[72:75], a[24:27], v175, v172 op_sel_hi:[0,0,0] cbsz:4 blgp:4// 000000004488: D3AC6800 000359AF D3AD8C18 8462917C
	s_cselect_b32 s68, s68, 0                                  // 000000004498: 85448044
	buffer_load_dwordx4 v[108:111], v188, s[16:19], 0 offen    // 00000000449C: E05C1000 80046CBC
	v_mfma_scale_f32_16x16x128_f8f6f4 a[28:31], v[124:127], v[76:79], a[28:31], v175, v172 op_sel_hi:[0,0,0] cbsz:4 blgp:4// 0000000044A4: D3AC7800 000359AF D3AD8C1C 8472997C
	s_add_u32 s12, s12, s66                                    // 0000000044B4: 800C420C
	ds_read_b128 v[16:19], v183 offset:64                      // 0000000044B8: D9FE0040 100000B7
	v_mfma_scale_f32_16x16x128_f8f6f4 a[16:19], v[128:131], v[80:83], a[16:19], v175, v172 op_sel_hi:[0,0,0] cbsz:4 blgp:4// 0000000044C0: D3AC6000 180359AF D3AD8C10 8442A180
	s_addc_u32 s13, 0, s13                                     // 0000000044D0: 820D0D80
	buffer_load_dwordx4 v[112:115], v187, s[16:19], 0 offen offset:1024// 0000000044D4: E05C1400 800470BB
	v_mfma_scale_f32_16x16x128_f8f6f4 a[20:23], v[128:131], v[84:87], a[20:23], v175, v172 op_sel_hi:[0,0,0] cbsz:4 blgp:4// 0000000044DC: D3AC7000 180359AF D3AD8C14 8452A980
	s_sub_u32 s14, s14, s66                                    // 0000000044EC: 808E420E
	ds_read_b128 v[12:15], v183 offset:512                     // 0000000044F0: D9FE0200 0C0000B7
	v_mfma_scale_f32_16x16x128_f8f6f4 a[24:27], v[132:135], v[80:83], a[24:27], v175, v172 op_sel_hi:[0,0,0] cbsz:4 blgp:4// 0000000044F8: D3AC6800 180359AF D3AD8C18 8462A184
	s_add_u32 s20, s20, s68                                    // 000000004508: 80144414
	buffer_load_dwordx4 v[116:119], v188, s[16:19], 0 offen offset:1024// 00000000450C: E05C1400 800474BC
	v_mfma_scale_f32_16x16x128_f8f6f4 a[28:31], v[132:135], v[84:87], a[28:31], v175, v172 op_sel_hi:[0,0,0] cbsz:4 blgp:4// 000000004514: D3AC7800 180359AF D3AD8C1C 8472A984
	s_addc_u32 s21, 0, s21                                     // 000000004524: 82151580
	ds_read_b128 v[20:23], v183 offset:576                     // 000000004528: D9FE0240 140000B7
	ds_read_b32 v168, v186 offset:2048                         // 000000004530: D86C0800 A80000BA
	s_waitcnt lgkmcnt(5)                                       // 000000004538: BF8CC57F
	v_mfma_scale_f32_16x16x128_f8f6f4 a[32:35], v[120:123], v[88:91], a[32:35], v175, v173 op_sel_hi:[0,0,0] cbsz:4 blgp:4// 00000000453C: D3AC6000 00035BAF D3AD8C20 8482B178
	s_sub_u32 s22, s22, s68                                    // 00000000454C: 80964416
	buffer_load_dword v174, v189, s[24:27], 0 offen            // 000000004550: E0501000 8006AEBD
	v_mfma_scale_f32_16x16x128_f8f6f4 a[36:39], v[120:123], v[92:95], a[36:39], v175, v173 op_sel_hi:[0,0,0] cbsz:4 blgp:4// 000000004558: D3AC7000 00035BAF D3AD8C24 8492B978
	s_add_u32 s63, 0x400, s60                                  // 000000004568: 803F3CFF 00000400
	ds_read_b128 v[24:27], v183 offset:4224                    // 000000004570: D9FE1080 180000B7
	v_mfma_scale_f32_16x16x128_f8f6f4 a[40:43], v[124:127], v[88:91], a[40:43], v175, v173 op_sel_hi:[0,0,0] cbsz:4 blgp:4// 000000004578: D3AC6800 00035BAF D3AD8C28 84A2B17C
	s_cmp_lt_u32 s63, s61                                      // 000000004588: BF0A3D3F
	s_cselect_b32 s67, s67, 0                                  // 00000000458C: 85438043
	v_mfma_scale_f32_16x16x128_f8f6f4 a[44:47], v[124:127], v[92:95], a[44:47], v175, v173 op_sel_hi:[0,0,0] cbsz:4 blgp:4// 000000004590: D3AC7800 00035BAF D3AD8C2C 84B2B97C
	s_cselect_b32 s69, s69, 0                                  // 0000000045A0: 85458045
	ds_read_b128 v[32:35], v183 offset:4288                    // 0000000045A4: D9FE10C0 200000B7
	v_mfma_scale_f32_16x16x128_f8f6f4 a[32:35], v[128:131], v[96:99], a[32:35], v175, v173 op_sel_hi:[0,0,0] cbsz:4 blgp:4// 0000000045AC: D3AC6000 18035BAF D3AD8C20 8482C180
	s_add_u32 s16, s16, s67                                    // 0000000045BC: 80104310
	s_addc_u32 s17, 0, s17                                     // 0000000045C0: 82111180
	v_mfma_scale_f32_16x16x128_f8f6f4 a[36:39], v[128:131], v[100:103], a[36:39], v175, v173 op_sel_hi:[0,0,0] cbsz:4 blgp:4// 0000000045C4: D3AC7000 18035BAF D3AD8C24 8492C980
	s_sub_u32 s18, s18, s67                                    // 0000000045D4: 80924312
	ds_read_b128 v[28:31], v183 offset:4736                    // 0000000045D8: D9FE1280 1C0000B7
	v_mfma_scale_f32_16x16x128_f8f6f4 a[40:43], v[132:135], v[96:99], a[40:43], v175, v173 op_sel_hi:[0,0,0] cbsz:4 blgp:4// 0000000045E0: D3AC6800 18035BAF D3AD8C28 84A2C184
	s_add_u32 s24, s24, s69                                    // 0000000045F0: 80184518
	s_addc_u32 s25, 0, s25                                     // 0000000045F4: 82191980
	v_mfma_scale_f32_16x16x128_f8f6f4 a[44:47], v[132:135], v[100:103], a[44:47], v175, v173 op_sel_hi:[0,0,0] cbsz:4 blgp:4// 0000000045F8: D3AC7800 18035BAF D3AD8C2C 84B2C984
	s_sub_u32 s26, s26, s69                                    // 000000004608: 809A451A
	ds_read_b128 v[36:39], v183 offset:4800                    // 00000000460C: D9FE12C0 240000B7
	ds_read_b32 v169, v186 offset:2304                         // 000000004614: D86C0900 A90000BA
	s_addk_i32 s60, 0x100                                      // 00000000461C: B73C0100
	s_cmp_lt_i32 s60, s61                                      // 000000004620: BF043D3C
	s_cbranch_scc0 label_07F7                                  // 000000004624: BF84016D
	s_waitcnt vmcnt(18) lgkmcnt(5)                             // 000000004628: BF8C4572
	s_barrier                                                  // 00000000462C: BF8A0000
	v_mfma_scale_f32_16x16x128_f8f6f4 a[0:3], v[136:139], v[8:11], a[0:3], v176, v168 op_sel_hi:[0,0,0] cbsz:4 blgp:4// 000000004630: D3AC6000 000351B0 D3AD8C00 84021188
	s_add_u32 m0, 0x400, s65                                   // 000000004640: 807C41FF 00000400
	buffer_load_dword v185, s[20:23], 0 offen lds              // 000000004648: E0511000 800500B9
	v_mfma_scale_f32_16x16x128_f8f6f4 a[4:7], v[136:139], v[12:15], a[4:7], v176, v168 op_sel_hi:[0,0,0] cbsz:4 blgp:4// 000000004650: D3AC7000 000351B0 D3AD8C04 84121988
	ds_read_b128 v[40:43], v183 offset:8448                    // 000000004660: D9FE2100 280000B7
	v_mfma_scale_f32_16x16x128_f8f6f4 a[8:11], v[140:143], v[8:11], a[8:11], v176, v168 op_sel_hi:[0,0,0] cbsz:4 blgp:4// 000000004668: D3AC6800 000351B0 D3AD8C08 8422118C
	s_add_u32 m0, 0x3180, s64                                  // 000000004678: 807C40FF 00003180
	buffer_load_dwordx4 v178, s[12:15], 0 offen lds            // 000000004680: E05D1000 800300B2
	v_mfma_scale_f32_16x16x128_f8f6f4 a[12:15], v[140:143], v[12:15], a[12:15], v176, v168 op_sel_hi:[0,0,0] cbsz:4 blgp:4// 000000004688: D3AC7800 000351B0 D3AD8C0C 8432198C
	ds_read_b128 v[48:51], v183 offset:8512                    // 000000004698: D9FE2140 300000B7
	v_mfma_scale_f32_16x16x128_f8f6f4 a[0:3], v[144:147], v[16:19], a[0:3], v176, v168 op_sel_hi:[0,0,0] cbsz:4 blgp:4// 0000000046A0: D3AC6000 180351B0 D3AD8C00 84022190
	s_add_u32 m0, 0x4200, s64                                  // 0000000046B0: 807C40FF 00004200
	buffer_load_dwordx4 v179, s[12:15], 0 offen lds            // 0000000046B8: E05D1000 800300B3
	v_mfma_scale_f32_16x16x128_f8f6f4 a[4:7], v[144:147], v[20:23], a[4:7], v176, v168 op_sel_hi:[0,0,0] cbsz:4 blgp:4// 0000000046C0: D3AC7000 180351B0 D3AD8C04 84122990
	ds_read_b128 v[44:47], v183 offset:8960                    // 0000000046D0: D9FE2300 2C0000B7
	v_mfma_scale_f32_16x16x128_f8f6f4 a[8:11], v[148:151], v[16:19], a[8:11], v176, v168 op_sel_hi:[0,0,0] cbsz:4 blgp:4// 0000000046D8: D3AC6800 180351B0 D3AD8C08 84222194
	s_add_u32 m0, 0x5280, s64                                  // 0000000046E8: 807C40FF 00005280
	buffer_load_dwordx4 v180, s[12:15], 0 offen lds            // 0000000046F0: E05D1000 800300B4
	v_mfma_scale_f32_16x16x128_f8f6f4 a[12:15], v[148:151], v[20:23], a[12:15], v176, v168 op_sel_hi:[0,0,0] cbsz:4 blgp:4// 0000000046F8: D3AC7800 180351B0 D3AD8C0C 84322994
	s_add_u32 s62, 0x400, s60                                  // 000000004708: 803E3CFF 00000400
	ds_read_b128 v[52:55], v183 offset:9024                    // 000000004710: D9FE2340 340000B7
	ds_read_b32 v170, v186 offset:2560                         // 000000004718: D86C0A00 AA0000BA
	s_waitcnt vmcnt(19) lgkmcnt(5)                             // 000000004720: BF8C4573
	s_barrier                                                  // 000000004724: BF8A0000
	v_mfma_scale_f32_16x16x128_f8f6f4 a[16:19], v[136:139], v[24:27], a[16:19], v176, v169 op_sel_hi:[0,0,0] cbsz:4 blgp:4// 000000004728: D3AC6000 000353B0 D3AD8C10 84423188
	s_cmp_lt_u32 s62, s61                                      // 000000004738: BF0A3D3E
	buffer_load_dwordx4 v[120:123], v187, s[16:19], 0 offen    // 00000000473C: E05C1000 800478BB
	v_mfma_scale_f32_16x16x128_f8f6f4 a[20:23], v[136:139], v[28:31], a[20:23], v176, v169 op_sel_hi:[0,0,0] cbsz:4 blgp:4// 000000004744: D3AC7000 000353B0 D3AD8C14 84523988
	s_cselect_b32 s66, s66, 0                                  // 000000004754: 85428042
	ds_read_b128 v[56:59], v184                                // 000000004758: D9FE0000 380000B8
	v_mfma_scale_f32_16x16x128_f8f6f4 a[24:27], v[140:143], v[24:27], a[24:27], v176, v169 op_sel_hi:[0,0,0] cbsz:4 blgp:4// 000000004760: D3AC6800 000353B0 D3AD8C18 8462318C
	s_cselect_b32 s68, s68, 0                                  // 000000004770: 85448044
	buffer_load_dwordx4 v[124:127], v188, s[16:19], 0 offen    // 000000004774: E05C1000 80047CBC
	v_mfma_scale_f32_16x16x128_f8f6f4 a[28:31], v[140:143], v[28:31], a[28:31], v176, v169 op_sel_hi:[0,0,0] cbsz:4 blgp:4// 00000000477C: D3AC7800 000353B0 D3AD8C1C 8472398C
	s_add_u32 s12, s12, s66                                    // 00000000478C: 800C420C
	ds_read_b128 v[64:67], v184 offset:64                      // 000000004790: D9FE0040 400000B8
	v_mfma_scale_f32_16x16x128_f8f6f4 a[16:19], v[144:147], v[32:35], a[16:19], v176, v169 op_sel_hi:[0,0,0] cbsz:4 blgp:4// 000000004798: D3AC6000 180353B0 D3AD8C10 84424190
	s_addc_u32 s13, 0, s13                                     // 0000000047A8: 820D0D80
	buffer_load_dwordx4 v[128:131], v187, s[16:19], 0 offen offset:1024// 0000000047AC: E05C1400 800480BB
	v_mfma_scale_f32_16x16x128_f8f6f4 a[20:23], v[144:147], v[36:39], a[20:23], v176, v169 op_sel_hi:[0,0,0] cbsz:4 blgp:4// 0000000047B4: D3AC7000 180353B0 D3AD8C14 84524990
	s_sub_u32 s14, s14, s66                                    // 0000000047C4: 808E420E
	ds_read_b128 v[60:63], v184 offset:512                     // 0000000047C8: D9FE0200 3C0000B8
	v_mfma_scale_f32_16x16x128_f8f6f4 a[24:27], v[148:151], v[32:35], a[24:27], v176, v169 op_sel_hi:[0,0,0] cbsz:4 blgp:4// 0000000047D0: D3AC6800 180353B0 D3AD8C18 84624194
	s_add_u32 s20, s20, s68                                    // 0000000047E0: 80144414
	buffer_load_dwordx4 v[132:135], v188, s[16:19], 0 offen offset:1024// 0000000047E4: E05C1400 800484BC
	v_mfma_scale_f32_16x16x128_f8f6f4 a[28:31], v[148:151], v[36:39], a[28:31], v176, v169 op_sel_hi:[0,0,0] cbsz:4 blgp:4// 0000000047EC: D3AC7800 180353B0 D3AD8C1C 84724994
	s_addc_u32 s21, 0, s21                                     // 0000000047FC: 82151580
	ds_read_b128 v[68:71], v184 offset:576                     // 000000004800: D9FE0240 440000B8
	ds_read_b32 v171, v186 offset:3072                         // 000000004808: D86C0C00 AB0000BA
	s_waitcnt lgkmcnt(5)                                       // 000000004810: BF8CC57F
	v_mfma_scale_f32_16x16x128_f8f6f4 a[32:35], v[136:139], v[40:43], a[32:35], v176, v170 op_sel_hi:[0,0,0] cbsz:4 blgp:4// 000000004814: D3AC6000 000355B0 D3AD8C20 84825188
	s_sub_u32 s22, s22, s68                                    // 000000004824: 80964416
	buffer_load_dword v175, v189, s[24:27], 0 offen            // 000000004828: E0501000 8006AFBD
	v_mfma_scale_f32_16x16x128_f8f6f4 a[36:39], v[136:139], v[44:47], a[36:39], v176, v170 op_sel_hi:[0,0,0] cbsz:4 blgp:4// 000000004830: D3AC7000 000355B0 D3AD8C24 84925988
	s_add_u32 s63, 0x400, s60                                  // 000000004840: 803F3CFF 00000400
	ds_read_b128 v[72:75], v184 offset:4224                    // 000000004848: D9FE1080 480000B8
	v_mfma_scale_f32_16x16x128_f8f6f4 a[40:43], v[140:143], v[40:43], a[40:43], v176, v170 op_sel_hi:[0,0,0] cbsz:4 blgp:4// 000000004850: D3AC6800 000355B0 D3AD8C28 84A2518C
	s_cmp_lt_u32 s63, s61                                      // 000000004860: BF0A3D3F
	s_cselect_b32 s67, s67, 0                                  // 000000004864: 85438043
	v_mfma_scale_f32_16x16x128_f8f6f4 a[44:47], v[140:143], v[44:47], a[44:47], v176, v170 op_sel_hi:[0,0,0] cbsz:4 blgp:4// 000000004868: D3AC7800 000355B0 D3AD8C2C 84B2598C
	s_cselect_b32 s69, s69, 0                                  // 000000004878: 85458045
	ds_read_b128 v[80:83], v184 offset:4288                    // 00000000487C: D9FE10C0 500000B8
	v_mfma_scale_f32_16x16x128_f8f6f4 a[32:35], v[144:147], v[48:51], a[32:35], v176, v170 op_sel_hi:[0,0,0] cbsz:4 blgp:4// 000000004884: D3AC6000 180355B0 D3AD8C20 84826190
	s_add_u32 s16, s16, s67                                    // 000000004894: 80104310
	s_addc_u32 s17, 0, s17                                     // 000000004898: 82111180
	v_mfma_scale_f32_16x16x128_f8f6f4 a[36:39], v[144:147], v[52:55], a[36:39], v176, v170 op_sel_hi:[0,0,0] cbsz:4 blgp:4// 00000000489C: D3AC7000 180355B0 D3AD8C24 84926990
	s_sub_u32 s18, s18, s67                                    // 0000000048AC: 80924312
	ds_read_b128 v[76:79], v184 offset:4736                    // 0000000048B0: D9FE1280 4C0000B8
	v_mfma_scale_f32_16x16x128_f8f6f4 a[40:43], v[148:151], v[48:51], a[40:43], v176, v170 op_sel_hi:[0,0,0] cbsz:4 blgp:4// 0000000048B8: D3AC6800 180355B0 D3AD8C28 84A26194
	s_add_u32 s24, s24, s69                                    // 0000000048C8: 80184518
	s_addc_u32 s25, 0, s25                                     // 0000000048CC: 82191980
	v_mfma_scale_f32_16x16x128_f8f6f4 a[44:47], v[148:151], v[52:55], a[44:47], v176, v170 op_sel_hi:[0,0,0] cbsz:4 blgp:4// 0000000048D0: D3AC7800 180355B0 D3AD8C2C 84B26994
	s_sub_u32 s26, s26, s69                                    // 0000000048E0: 809A451A
	ds_read_b128 v[84:87], v184 offset:4800                    // 0000000048E4: D9FE12C0 540000B8
	ds_read_b32 v172, v186 offset:3328                         // 0000000048EC: D86C0D00 AC0000BA
	s_addk_i32 s60, 0x100                                      // 0000000048F4: B73C0100
	s_cmp_lt_i32 s60, s61                                      // 0000000048F8: BF043D3C
	s_cbranch_scc0 label_07F7                                  // 0000000048FC: BF8400B7
	s_waitcnt vmcnt(18) lgkmcnt(5)                             // 000000004900: BF8C4572
	s_barrier                                                  // 000000004904: BF8A0000
	v_mfma_scale_f32_16x16x128_f8f6f4 a[0:3], v[152:155], v[56:59], a[0:3], v177, v171 op_sel_hi:[0,0,0] cbsz:4 blgp:4// 000000004908: D3AC6000 000357B1 D3AD8C00 84027198
	s_add_u32 m0, 0x800, s65                                   // 000000004918: 807C41FF 00000800
	buffer_load_dword v185, s[20:23], 0 offen lds              // 000000004920: E0511000 800500B9
	v_mfma_scale_f32_16x16x128_f8f6f4 a[4:7], v[152:155], v[60:63], a[4:7], v177, v171 op_sel_hi:[0,0,0] cbsz:4 blgp:4// 000000004928: D3AC7000 000357B1 D3AD8C04 84127998
	ds_read_b128 v[88:91], v184 offset:8448                    // 000000004938: D9FE2100 580000B8
	v_mfma_scale_f32_16x16x128_f8f6f4 a[8:11], v[156:159], v[56:59], a[8:11], v177, v171 op_sel_hi:[0,0,0] cbsz:4 blgp:4// 000000004940: D3AC6800 000357B1 D3AD8C08 8422719C
	s_add_u32 m0, 0x6300, s64                                  // 000000004950: 807C40FF 00006300
	buffer_load_dwordx4 v178, s[12:15], 0 offen lds            // 000000004958: E05D1000 800300B2
	v_mfma_scale_f32_16x16x128_f8f6f4 a[12:15], v[156:159], v[60:63], a[12:15], v177, v171 op_sel_hi:[0,0,0] cbsz:4 blgp:4// 000000004960: D3AC7800 000357B1 D3AD8C0C 8432799C
	ds_read_b128 v[96:99], v184 offset:8512                    // 000000004970: D9FE2140 600000B8
	v_mfma_scale_f32_16x16x128_f8f6f4 a[0:3], v[160:163], v[64:67], a[0:3], v177, v171 op_sel_hi:[0,0,0] cbsz:4 blgp:4// 000000004978: D3AC6000 180357B1 D3AD8C00 840281A0
	s_add_u32 m0, 0x7380, s64                                  // 000000004988: 807C40FF 00007380
	buffer_load_dwordx4 v179, s[12:15], 0 offen lds            // 000000004990: E05D1000 800300B3
	v_mfma_scale_f32_16x16x128_f8f6f4 a[4:7], v[160:163], v[68:71], a[4:7], v177, v171 op_sel_hi:[0,0,0] cbsz:4 blgp:4// 000000004998: D3AC7000 180357B1 D3AD8C04 841289A0
	ds_read_b128 v[92:95], v184 offset:8960                    // 0000000049A8: D9FE2300 5C0000B8
	v_mfma_scale_f32_16x16x128_f8f6f4 a[8:11], v[164:167], v[64:67], a[8:11], v177, v171 op_sel_hi:[0,0,0] cbsz:4 blgp:4// 0000000049B0: D3AC6800 180357B1 D3AD8C08 842281A4
	s_add_u32 m0, 0x8400, s64                                  // 0000000049C0: 807C40FF 00008400
	buffer_load_dwordx4 v180, s[12:15], 0 offen lds            // 0000000049C8: E05D1000 800300B4
	v_mfma_scale_f32_16x16x128_f8f6f4 a[12:15], v[164:167], v[68:71], a[12:15], v177, v171 op_sel_hi:[0,0,0] cbsz:4 blgp:4// 0000000049D0: D3AC7800 180357B1 D3AD8C0C 843289A4
	s_add_u32 s62, 0x400, s60                                  // 0000000049E0: 803E3CFF 00000400
	ds_read_b128 v[100:103], v184 offset:9024                  // 0000000049E8: D9FE2340 640000B8
	ds_read_b32 v173, v186 offset:3584                         // 0000000049F0: D86C0E00 AD0000BA
	s_waitcnt vmcnt(19) lgkmcnt(5)                             // 0000000049F8: BF8C4573
	s_barrier                                                  // 0000000049FC: BF8A0000
	v_mfma_scale_f32_16x16x128_f8f6f4 a[16:19], v[152:155], v[72:75], a[16:19], v177, v172 op_sel_hi:[0,0,0] cbsz:4 blgp:4// 000000004A00: D3AC6000 000359B1 D3AD8C10 84429198
	s_cmp_lt_u32 s62, s61                                      // 000000004A10: BF0A3D3E
	buffer_load_dwordx4 v[136:139], v187, s[16:19], 0 offen    // 000000004A14: E05C1000 800488BB
	v_mfma_scale_f32_16x16x128_f8f6f4 a[20:23], v[152:155], v[76:79], a[20:23], v177, v172 op_sel_hi:[0,0,0] cbsz:4 blgp:4// 000000004A1C: D3AC7000 000359B1 D3AD8C14 84529998
	s_cselect_b32 s66, s66, 0                                  // 000000004A2C: 85428042
	ds_read_b128 v[8:11], v181                                 // 000000004A30: D9FE0000 080000B5
	v_mfma_scale_f32_16x16x128_f8f6f4 a[24:27], v[156:159], v[72:75], a[24:27], v177, v172 op_sel_hi:[0,0,0] cbsz:4 blgp:4// 000000004A38: D3AC6800 000359B1 D3AD8C18 8462919C
	s_cselect_b32 s68, s68, 0                                  // 000000004A48: 85448044
	buffer_load_dwordx4 v[140:143], v188, s[16:19], 0 offen    // 000000004A4C: E05C1000 80048CBC
	v_mfma_scale_f32_16x16x128_f8f6f4 a[28:31], v[156:159], v[76:79], a[28:31], v177, v172 op_sel_hi:[0,0,0] cbsz:4 blgp:4// 000000004A54: D3AC7800 000359B1 D3AD8C1C 8472999C
	s_add_u32 s12, s12, s66                                    // 000000004A64: 800C420C
	ds_read_b128 v[16:19], v181 offset:64                      // 000000004A68: D9FE0040 100000B5
	v_mfma_scale_f32_16x16x128_f8f6f4 a[16:19], v[160:163], v[80:83], a[16:19], v177, v172 op_sel_hi:[0,0,0] cbsz:4 blgp:4// 000000004A70: D3AC6000 180359B1 D3AD8C10 8442A1A0
	s_addc_u32 s13, 0, s13                                     // 000000004A80: 820D0D80
	buffer_load_dwordx4 v[144:147], v187, s[16:19], 0 offen offset:1024// 000000004A84: E05C1400 800490BB
	v_mfma_scale_f32_16x16x128_f8f6f4 a[20:23], v[160:163], v[84:87], a[20:23], v177, v172 op_sel_hi:[0,0,0] cbsz:4 blgp:4// 000000004A8C: D3AC7000 180359B1 D3AD8C14 8452A9A0
	s_sub_u32 s14, s14, s66                                    // 000000004A9C: 808E420E
	ds_read_b128 v[12:15], v181 offset:512                     // 000000004AA0: D9FE0200 0C0000B5
	v_mfma_scale_f32_16x16x128_f8f6f4 a[24:27], v[164:167], v[80:83], a[24:27], v177, v172 op_sel_hi:[0,0,0] cbsz:4 blgp:4// 000000004AA8: D3AC6800 180359B1 D3AD8C18 8462A1A4
	s_add_u32 s20, s20, s68                                    // 000000004AB8: 80144414
	buffer_load_dwordx4 v[148:151], v188, s[16:19], 0 offen offset:1024// 000000004ABC: E05C1400 800494BC
	v_mfma_scale_f32_16x16x128_f8f6f4 a[28:31], v[164:167], v[84:87], a[28:31], v177, v172 op_sel_hi:[0,0,0] cbsz:4 blgp:4// 000000004AC4: D3AC7800 180359B1 D3AD8C1C 8472A9A4
	s_addc_u32 s21, 0, s21                                     // 000000004AD4: 82151580
	ds_read_b128 v[20:23], v181 offset:576                     // 000000004AD8: D9FE0240 140000B5
	ds_read_b32 v168, v186                                     // 000000004AE0: D86C0000 A80000BA
	s_waitcnt lgkmcnt(5)                                       // 000000004AE8: BF8CC57F
	v_mfma_scale_f32_16x16x128_f8f6f4 a[32:35], v[152:155], v[88:91], a[32:35], v177, v173 op_sel_hi:[0,0,0] cbsz:4 blgp:4// 000000004AEC: D3AC6000 00035BB1 D3AD8C20 8482B198
	s_sub_u32 s22, s22, s68                                    // 000000004AFC: 80964416
	buffer_load_dword v176, v189, s[24:27], 0 offen            // 000000004B00: E0501000 8006B0BD
	v_mfma_scale_f32_16x16x128_f8f6f4 a[36:39], v[152:155], v[92:95], a[36:39], v177, v173 op_sel_hi:[0,0,0] cbsz:4 blgp:4// 000000004B08: D3AC7000 00035BB1 D3AD8C24 8492B998
	s_add_u32 s63, 0x400, s60                                  // 000000004B18: 803F3CFF 00000400
	ds_read_b128 v[24:27], v181 offset:4224                    // 000000004B20: D9FE1080 180000B5
	v_mfma_scale_f32_16x16x128_f8f6f4 a[40:43], v[156:159], v[88:91], a[40:43], v177, v173 op_sel_hi:[0,0,0] cbsz:4 blgp:4// 000000004B28: D3AC6800 00035BB1 D3AD8C28 84A2B19C
	s_cmp_lt_u32 s63, s61                                      // 000000004B38: BF0A3D3F
	s_cselect_b32 s67, s67, 0                                  // 000000004B3C: 85438043
	v_mfma_scale_f32_16x16x128_f8f6f4 a[44:47], v[156:159], v[92:95], a[44:47], v177, v173 op_sel_hi:[0,0,0] cbsz:4 blgp:4// 000000004B40: D3AC7800 00035BB1 D3AD8C2C 84B2B99C
	s_cselect_b32 s69, s69, 0                                  // 000000004B50: 85458045
	ds_read_b128 v[32:35], v181 offset:4288                    // 000000004B54: D9FE10C0 200000B5
	v_mfma_scale_f32_16x16x128_f8f6f4 a[32:35], v[160:163], v[96:99], a[32:35], v177, v173 op_sel_hi:[0,0,0] cbsz:4 blgp:4// 000000004B5C: D3AC6000 18035BB1 D3AD8C20 8482C1A0
	s_add_u32 s16, s16, s67                                    // 000000004B6C: 80104310
	s_addc_u32 s17, 0, s17                                     // 000000004B70: 82111180
	v_mfma_scale_f32_16x16x128_f8f6f4 a[36:39], v[160:163], v[100:103], a[36:39], v177, v173 op_sel_hi:[0,0,0] cbsz:4 blgp:4// 000000004B74: D3AC7000 18035BB1 D3AD8C24 8492C9A0
	s_sub_u32 s18, s18, s67                                    // 000000004B84: 80924312
	ds_read_b128 v[28:31], v181 offset:4736                    // 000000004B88: D9FE1280 1C0000B5
	v_mfma_scale_f32_16x16x128_f8f6f4 a[40:43], v[164:167], v[96:99], a[40:43], v177, v173 op_sel_hi:[0,0,0] cbsz:4 blgp:4// 000000004B90: D3AC6800 18035BB1 D3AD8C28 84A2C1A4
	s_add_u32 s24, s24, s69                                    // 000000004BA0: 80184518
	s_addc_u32 s25, 0, s25                                     // 000000004BA4: 82191980
	v_mfma_scale_f32_16x16x128_f8f6f4 a[44:47], v[164:167], v[100:103], a[44:47], v177, v173 op_sel_hi:[0,0,0] cbsz:4 blgp:4// 000000004BA8: D3AC7800 18035BB1 D3AD8C2C 84B2C9A4
	s_sub_u32 s26, s26, s69                                    // 000000004BB8: 809A451A
	ds_read_b128 v[36:39], v181 offset:4800                    // 000000004BBC: D9FE12C0 240000B5
	ds_read_b32 v169, v186 offset:256                          // 000000004BC4: D86C0100 A90000BA
	s_addk_i32 s60, 0x100                                      // 000000004BCC: B73C0100
	s_cmp_lt_i32 s60, s61                                      // 000000004BD0: BF043D3C
	s_cbranch_scc0 label_07F7                                  // 000000004BD4: BF840001
	s_branch label_0520                                        // 000000004BD8: BF82FD29

0000000000004bdc <label_07F7>:
	s_waitcnt lgkmcnt(0)                                       // 000000004BDC: BF8CC07F
	s_mul_i32 s62, s47, 0x80                                   // 000000004BE0: 923EFF2F 00000080
	s_mul_i32 s63, s46, 32                                     // 000000004BE8: 923FA02E
	s_add_u32 s60, s62, s63                                    // 000000004BEC: 803C3F3E
	s_add_u32 s62, s60, 32                                     // 000000004BF0: 803EA03C
	s_cmp_lt_i32 s44, s62                                      // 000000004BF4: BF043E2C
	s_cbranch_scc1 label_08C2                                  // 000000004BF8: BF8500C3
	s_mul_i32 s62, s36, 16                                     // 000000004BFC: 923E9024
	v_add_u32_e32 v194, 0, v190                                // 000000004C00: 69857C80
	v_accvgpr_read_b32 v8, a0                                  // 000000004C04: D3D84008 18000100
	v_accvgpr_read_b32 v9, a1                                  // 000000004C0C: D3D84009 18000101
	v_accvgpr_read_b32 v10, a2                                 // 000000004C14: D3D8400A 18000102
	v_accvgpr_read_b32 v11, a3                                 // 000000004C1C: D3D8400B 18000103
	v_accvgpr_read_b32 v12, a8                                 // 000000004C24: D3D8400C 18000108
	v_accvgpr_read_b32 v13, a9                                 // 000000004C2C: D3D8400D 18000109
	v_accvgpr_read_b32 v14, a10                                // 000000004C34: D3D8400E 1800010A
	v_accvgpr_read_b32 v15, a11                                // 000000004C3C: D3D8400F 1800010B
	v_cvt_pk_bf16_f32 v16, v8, v9                              // 000000004C44: D2680010 00021308
	v_cvt_pk_bf16_f32 v17, v10, v11                            // 000000004C4C: D2680011 0002170A
	v_cvt_pk_bf16_f32 v18, v12, v13                            // 000000004C54: D2680012 00021B0C
	v_cvt_pk_bf16_f32 v19, v14, v15                            // 000000004C5C: D2680013 00021F0E
	s_nop 1                                                    // 000000004C64: BF800001
	v_permlane16_swap_b32_e32 v16, v18                         // 000000004C68: 7E20B312
	s_nop 1                                                    // 000000004C6C: BF800001
	v_permlane16_swap_b32_e32 v17, v19                         // 000000004C70: 7E22B313
	s_nop 1                                                    // 000000004C74: BF800001
	buffer_store_dwordx4 v[16:19], v194, s[4:7], 0 offen       // 000000004C78: E07C1000 800110C2
	v_add_u32_e32 v194, s62, v194                              // 000000004C80: 6985843E
	v_accvgpr_read_b32 v8, a4                                  // 000000004C84: D3D84008 18000104
	v_accvgpr_read_b32 v9, a5                                  // 000000004C8C: D3D84009 18000105
	v_accvgpr_read_b32 v10, a6                                 // 000000004C94: D3D8400A 18000106
	v_accvgpr_read_b32 v11, a7                                 // 000000004C9C: D3D8400B 18000107
	v_accvgpr_read_b32 v12, a12                                // 000000004CA4: D3D8400C 1800010C
	v_accvgpr_read_b32 v13, a13                                // 000000004CAC: D3D8400D 1800010D
	v_accvgpr_read_b32 v14, a14                                // 000000004CB4: D3D8400E 1800010E
	v_accvgpr_read_b32 v15, a15                                // 000000004CBC: D3D8400F 1800010F
	v_cvt_pk_bf16_f32 v16, v8, v9                              // 000000004CC4: D2680010 00021308
	v_cvt_pk_bf16_f32 v17, v10, v11                            // 000000004CCC: D2680011 0002170A
	v_cvt_pk_bf16_f32 v18, v12, v13                            // 000000004CD4: D2680012 00021B0C
	v_cvt_pk_bf16_f32 v19, v14, v15                            // 000000004CDC: D2680013 00021F0E
	s_nop 1                                                    // 000000004CE4: BF800001
	v_permlane16_swap_b32_e32 v16, v18                         // 000000004CE8: 7E20B312
	s_nop 1                                                    // 000000004CEC: BF800001
	v_permlane16_swap_b32_e32 v17, v19                         // 000000004CF0: 7E22B313
	s_nop 1                                                    // 000000004CF4: BF800001
	buffer_store_dwordx4 v[16:19], v194, s[4:7], 0 offen       // 000000004CF8: E07C1000 800110C2
	v_add_u32_e32 v194, s62, v194                              // 000000004D00: 6985843E
	v_accvgpr_read_b32 v8, a16                                 // 000000004D04: D3D84008 18000110
	v_accvgpr_read_b32 v9, a17                                 // 000000004D0C: D3D84009 18000111
	v_accvgpr_read_b32 v10, a18                                // 000000004D14: D3D8400A 18000112
	v_accvgpr_read_b32 v11, a19                                // 000000004D1C: D3D8400B 18000113
	v_accvgpr_read_b32 v12, a24                                // 000000004D24: D3D8400C 18000118
	v_accvgpr_read_b32 v13, a25                                // 000000004D2C: D3D8400D 18000119
	v_accvgpr_read_b32 v14, a26                                // 000000004D34: D3D8400E 1800011A
	v_accvgpr_read_b32 v15, a27                                // 000000004D3C: D3D8400F 1800011B
	v_cvt_pk_bf16_f32 v16, v8, v9                              // 000000004D44: D2680010 00021308
	v_cvt_pk_bf16_f32 v17, v10, v11                            // 000000004D4C: D2680011 0002170A
	v_cvt_pk_bf16_f32 v18, v12, v13                            // 000000004D54: D2680012 00021B0C
	v_cvt_pk_bf16_f32 v19, v14, v15                            // 000000004D5C: D2680013 00021F0E
	s_nop 1                                                    // 000000004D64: BF800001
	v_permlane16_swap_b32_e32 v16, v18                         // 000000004D68: 7E20B312
	s_nop 1                                                    // 000000004D6C: BF800001
	v_permlane16_swap_b32_e32 v17, v19                         // 000000004D70: 7E22B313
	s_nop 1                                                    // 000000004D74: BF800001
	buffer_store_dwordx4 v[16:19], v194, s[4:7], 0 offen       // 000000004D78: E07C1000 800110C2
	v_add_u32_e32 v194, s62, v194                              // 000000004D80: 6985843E
	v_accvgpr_read_b32 v8, a20                                 // 000000004D84: D3D84008 18000114
	v_accvgpr_read_b32 v9, a21                                 // 000000004D8C: D3D84009 18000115
	v_accvgpr_read_b32 v10, a22                                // 000000004D94: D3D8400A 18000116
	v_accvgpr_read_b32 v11, a23                                // 000000004D9C: D3D8400B 18000117
	v_accvgpr_read_b32 v12, a28                                // 000000004DA4: D3D8400C 1800011C
	v_accvgpr_read_b32 v13, a29                                // 000000004DAC: D3D8400D 1800011D
	v_accvgpr_read_b32 v14, a30                                // 000000004DB4: D3D8400E 1800011E
	v_accvgpr_read_b32 v15, a31                                // 000000004DBC: D3D8400F 1800011F
	v_cvt_pk_bf16_f32 v16, v8, v9                              // 000000004DC4: D2680010 00021308
	v_cvt_pk_bf16_f32 v17, v10, v11                            // 000000004DCC: D2680011 0002170A
	v_cvt_pk_bf16_f32 v18, v12, v13                            // 000000004DD4: D2680012 00021B0C
	v_cvt_pk_bf16_f32 v19, v14, v15                            // 000000004DDC: D2680013 00021F0E
	s_nop 1                                                    // 000000004DE4: BF800001
	v_permlane16_swap_b32_e32 v16, v18                         // 000000004DE8: 7E20B312
	s_nop 1                                                    // 000000004DEC: BF800001
	v_permlane16_swap_b32_e32 v17, v19                         // 000000004DF0: 7E22B313
	s_nop 1                                                    // 000000004DF4: BF800001
	buffer_store_dwordx4 v[16:19], v194, s[4:7], 0 offen       // 000000004DF8: E07C1000 800110C2
	v_add_u32_e32 v194, s62, v194                              // 000000004E00: 6985843E
	v_accvgpr_read_b32 v8, a32                                 // 000000004E04: D3D84008 18000120
	v_accvgpr_read_b32 v9, a33                                 // 000000004E0C: D3D84009 18000121
	v_accvgpr_read_b32 v10, a34                                // 000000004E14: D3D8400A 18000122
	v_accvgpr_read_b32 v11, a35                                // 000000004E1C: D3D8400B 18000123
	v_accvgpr_read_b32 v12, a40                                // 000000004E24: D3D8400C 18000128
	v_accvgpr_read_b32 v13, a41                                // 000000004E2C: D3D8400D 18000129
	v_accvgpr_read_b32 v14, a42                                // 000000004E34: D3D8400E 1800012A
	v_accvgpr_read_b32 v15, a43                                // 000000004E3C: D3D8400F 1800012B
	v_cvt_pk_bf16_f32 v16, v8, v9                              // 000000004E44: D2680010 00021308
	v_cvt_pk_bf16_f32 v17, v10, v11                            // 000000004E4C: D2680011 0002170A
	v_cvt_pk_bf16_f32 v18, v12, v13                            // 000000004E54: D2680012 00021B0C
	v_cvt_pk_bf16_f32 v19, v14, v15                            // 000000004E5C: D2680013 00021F0E
	s_nop 1                                                    // 000000004E64: BF800001
	v_permlane16_swap_b32_e32 v16, v18                         // 000000004E68: 7E20B312
	s_nop 1                                                    // 000000004E6C: BF800001
	v_permlane16_swap_b32_e32 v17, v19                         // 000000004E70: 7E22B313
	s_nop 1                                                    // 000000004E74: BF800001
	buffer_store_dwordx4 v[16:19], v194, s[4:7], 0 offen       // 000000004E78: E07C1000 800110C2
	v_add_u32_e32 v194, s62, v194                              // 000000004E80: 6985843E
	v_accvgpr_read_b32 v8, a36                                 // 000000004E84: D3D84008 18000124
	v_accvgpr_read_b32 v9, a37                                 // 000000004E8C: D3D84009 18000125
	v_accvgpr_read_b32 v10, a38                                // 000000004E94: D3D8400A 18000126
	v_accvgpr_read_b32 v11, a39                                // 000000004E9C: D3D8400B 18000127
	v_accvgpr_read_b32 v12, a44                                // 000000004EA4: D3D8400C 1800012C
	v_accvgpr_read_b32 v13, a45                                // 000000004EAC: D3D8400D 1800012D
	v_accvgpr_read_b32 v14, a46                                // 000000004EB4: D3D8400E 1800012E
	v_accvgpr_read_b32 v15, a47                                // 000000004EBC: D3D8400F 1800012F
	v_cvt_pk_bf16_f32 v16, v8, v9                              // 000000004EC4: D2680010 00021308
	v_cvt_pk_bf16_f32 v17, v10, v11                            // 000000004ECC: D2680011 0002170A
	v_cvt_pk_bf16_f32 v18, v12, v13                            // 000000004ED4: D2680012 00021B0C
	v_cvt_pk_bf16_f32 v19, v14, v15                            // 000000004EDC: D2680013 00021F0E
	s_nop 1                                                    // 000000004EE4: BF800001
	v_permlane16_swap_b32_e32 v16, v18                         // 000000004EE8: 7E20B312
	s_nop 1                                                    // 000000004EEC: BF800001
	v_permlane16_swap_b32_e32 v17, v19                         // 000000004EF0: 7E22B313
	s_nop 1                                                    // 000000004EF4: BF800001
	buffer_store_dwordx4 v[16:19], v194, s[4:7], 0 offen       // 000000004EF8: E07C1000 800110C2
	v_add_u32_e32 v194, s62, v194                              // 000000004F00: 6985843E
	s_branch label_0987                                        // 000000004F04: BF8200C5

0000000000004f08 <label_08C2>:
	s_mul_i32 s62, s36, 16                                     // 000000004F08: 923E9024
	s_cmp_lt_i32 s60, s44                                      // 000000004F0C: BF042C3C
	s_cbranch_scc0 label_0987                                  // 000000004F10: BF8400C2
	s_addk_i32 s60, 0x20                                       // 000000004F14: B73C0020
	v_add_u32_e32 v194, 0, v190                                // 000000004F18: 69857C80
	v_accvgpr_read_b32 v8, a0                                  // 000000004F1C: D3D84008 18000100
	v_accvgpr_read_b32 v9, a1                                  // 000000004F24: D3D84009 18000101
	v_accvgpr_read_b32 v10, a2                                 // 000000004F2C: D3D8400A 18000102
	v_accvgpr_read_b32 v11, a3                                 // 000000004F34: D3D8400B 18000103
	v_accvgpr_read_b32 v12, a8                                 // 000000004F3C: D3D8400C 18000108
	v_accvgpr_read_b32 v13, a9                                 // 000000004F44: D3D8400D 18000109
	v_accvgpr_read_b32 v14, a10                                // 000000004F4C: D3D8400E 1800010A
	v_accvgpr_read_b32 v15, a11                                // 000000004F54: D3D8400F 1800010B
	v_cvt_pk_bf16_f32 v16, v8, v9                              // 000000004F5C: D2680010 00021308
	v_cvt_pk_bf16_f32 v17, v10, v11                            // 000000004F64: D2680011 0002170A
	v_cvt_pk_bf16_f32 v18, v12, v13                            // 000000004F6C: D2680012 00021B0C
	v_cvt_pk_bf16_f32 v19, v14, v15                            // 000000004F74: D2680013 00021F0E
	s_nop 1                                                    // 000000004F7C: BF800001
	v_permlane16_swap_b32_e32 v16, v18                         // 000000004F80: 7E20B312
	s_nop 1                                                    // 000000004F84: BF800001
	v_permlane16_swap_b32_e32 v17, v19                         // 000000004F88: 7E22B313
	s_nop 1                                                    // 000000004F8C: BF800001
	buffer_store_dwordx4 v[16:19], v194, s[4:7], 0 offen       // 000000004F90: E07C1000 800110C2
	v_add_u32_e32 v194, s62, v194                              // 000000004F98: 6985843E
	v_accvgpr_read_b32 v8, a4                                  // 000000004F9C: D3D84008 18000104
	v_accvgpr_read_b32 v9, a5                                  // 000000004FA4: D3D84009 18000105
	v_accvgpr_read_b32 v10, a6                                 // 000000004FAC: D3D8400A 18000106
	v_accvgpr_read_b32 v11, a7                                 // 000000004FB4: D3D8400B 18000107
	v_accvgpr_read_b32 v12, a12                                // 000000004FBC: D3D8400C 1800010C
	v_accvgpr_read_b32 v13, a13                                // 000000004FC4: D3D8400D 1800010D
	v_accvgpr_read_b32 v14, a14                                // 000000004FCC: D3D8400E 1800010E
	v_accvgpr_read_b32 v15, a15                                // 000000004FD4: D3D8400F 1800010F
	v_cvt_pk_bf16_f32 v16, v8, v9                              // 000000004FDC: D2680010 00021308
	v_cvt_pk_bf16_f32 v17, v10, v11                            // 000000004FE4: D2680011 0002170A
	v_cvt_pk_bf16_f32 v18, v12, v13                            // 000000004FEC: D2680012 00021B0C
	v_cvt_pk_bf16_f32 v19, v14, v15                            // 000000004FF4: D2680013 00021F0E
	s_nop 1                                                    // 000000004FFC: BF800001
	v_permlane16_swap_b32_e32 v16, v18                         // 000000005000: 7E20B312
	s_nop 1                                                    // 000000005004: BF800001
	v_permlane16_swap_b32_e32 v17, v19                         // 000000005008: 7E22B313
	s_nop 1                                                    // 00000000500C: BF800001
	buffer_store_dwordx4 v[16:19], v194, s[4:7], 0 offen       // 000000005010: E07C1000 800110C2
	v_add_u32_e32 v194, s62, v194                              // 000000005018: 6985843E
	v_accvgpr_read_b32 v8, a16                                 // 00000000501C: D3D84008 18000110
	v_accvgpr_read_b32 v9, a17                                 // 000000005024: D3D84009 18000111
	v_accvgpr_read_b32 v10, a18                                // 00000000502C: D3D8400A 18000112
	v_accvgpr_read_b32 v11, a19                                // 000000005034: D3D8400B 18000113
	v_accvgpr_read_b32 v12, a24                                // 00000000503C: D3D8400C 18000118
	v_accvgpr_read_b32 v13, a25                                // 000000005044: D3D8400D 18000119
	v_accvgpr_read_b32 v14, a26                                // 00000000504C: D3D8400E 1800011A
	v_accvgpr_read_b32 v15, a27                                // 000000005054: D3D8400F 1800011B
	v_cvt_pk_bf16_f32 v16, v8, v9                              // 00000000505C: D2680010 00021308
	v_cvt_pk_bf16_f32 v17, v10, v11                            // 000000005064: D2680011 0002170A
	v_cvt_pk_bf16_f32 v18, v12, v13                            // 00000000506C: D2680012 00021B0C
	v_cvt_pk_bf16_f32 v19, v14, v15                            // 000000005074: D2680013 00021F0E
	s_nop 1                                                    // 00000000507C: BF800001
	v_permlane16_swap_b32_e32 v16, v18                         // 000000005080: 7E20B312
	s_nop 1                                                    // 000000005084: BF800001
	v_permlane16_swap_b32_e32 v17, v19                         // 000000005088: 7E22B313
	s_nop 1                                                    // 00000000508C: BF800001
	buffer_store_dwordx4 v[16:19], v194, s[4:7], 0 offen       // 000000005090: E07C1000 800110C2
	v_add_u32_e32 v194, s62, v194                              // 000000005098: 6985843E
	v_accvgpr_read_b32 v8, a20                                 // 00000000509C: D3D84008 18000114
	v_accvgpr_read_b32 v9, a21                                 // 0000000050A4: D3D84009 18000115
	v_accvgpr_read_b32 v10, a22                                // 0000000050AC: D3D8400A 18000116
	v_accvgpr_read_b32 v11, a23                                // 0000000050B4: D3D8400B 18000117
	v_accvgpr_read_b32 v12, a28                                // 0000000050BC: D3D8400C 1800011C
	v_accvgpr_read_b32 v13, a29                                // 0000000050C4: D3D8400D 1800011D
	v_accvgpr_read_b32 v14, a30                                // 0000000050CC: D3D8400E 1800011E
	v_accvgpr_read_b32 v15, a31                                // 0000000050D4: D3D8400F 1800011F
	v_cvt_pk_bf16_f32 v16, v8, v9                              // 0000000050DC: D2680010 00021308
	v_cvt_pk_bf16_f32 v17, v10, v11                            // 0000000050E4: D2680011 0002170A
	v_cvt_pk_bf16_f32 v18, v12, v13                            // 0000000050EC: D2680012 00021B0C
	v_cvt_pk_bf16_f32 v19, v14, v15                            // 0000000050F4: D2680013 00021F0E
	s_nop 1                                                    // 0000000050FC: BF800001
	v_permlane16_swap_b32_e32 v16, v18                         // 000000005100: 7E20B312
	s_nop 1                                                    // 000000005104: BF800001
	v_permlane16_swap_b32_e32 v17, v19                         // 000000005108: 7E22B313
	s_nop 1                                                    // 00000000510C: BF800001
	buffer_store_dwordx4 v[16:19], v194, s[4:7], 0 offen       // 000000005110: E07C1000 800110C2
	v_add_u32_e32 v194, s62, v194                              // 000000005118: 6985843E
	v_accvgpr_read_b32 v8, a32                                 // 00000000511C: D3D84008 18000120
	v_accvgpr_read_b32 v9, a33                                 // 000000005124: D3D84009 18000121
	v_accvgpr_read_b32 v10, a34                                // 00000000512C: D3D8400A 18000122
	v_accvgpr_read_b32 v11, a35                                // 000000005134: D3D8400B 18000123
	v_accvgpr_read_b32 v12, a40                                // 00000000513C: D3D8400C 18000128
	v_accvgpr_read_b32 v13, a41                                // 000000005144: D3D8400D 18000129
	v_accvgpr_read_b32 v14, a42                                // 00000000514C: D3D8400E 1800012A
	v_accvgpr_read_b32 v15, a43                                // 000000005154: D3D8400F 1800012B
	v_cvt_pk_bf16_f32 v16, v8, v9                              // 00000000515C: D2680010 00021308
	v_cvt_pk_bf16_f32 v17, v10, v11                            // 000000005164: D2680011 0002170A
	v_cvt_pk_bf16_f32 v18, v12, v13                            // 00000000516C: D2680012 00021B0C
	v_cvt_pk_bf16_f32 v19, v14, v15                            // 000000005174: D2680013 00021F0E
	s_nop 1                                                    // 00000000517C: BF800001
	v_permlane16_swap_b32_e32 v16, v18                         // 000000005180: 7E20B312
	s_nop 1                                                    // 000000005184: BF800001
	v_permlane16_swap_b32_e32 v17, v19                         // 000000005188: 7E22B313
	s_nop 1                                                    // 00000000518C: BF800001
	buffer_store_dwordx4 v[16:19], v194, s[4:7], 0 offen       // 000000005190: E07C1000 800110C2
	v_add_u32_e32 v194, s62, v194                              // 000000005198: 6985843E
	v_accvgpr_read_b32 v8, a36                                 // 00000000519C: D3D84008 18000124
	v_accvgpr_read_b32 v9, a37                                 // 0000000051A4: D3D84009 18000125
	v_accvgpr_read_b32 v10, a38                                // 0000000051AC: D3D8400A 18000126
	v_accvgpr_read_b32 v11, a39                                // 0000000051B4: D3D8400B 18000127
	v_accvgpr_read_b32 v12, a44                                // 0000000051BC: D3D8400C 1800012C
	v_accvgpr_read_b32 v13, a45                                // 0000000051C4: D3D8400D 1800012D
	v_accvgpr_read_b32 v14, a46                                // 0000000051CC: D3D8400E 1800012E
	v_accvgpr_read_b32 v15, a47                                // 0000000051D4: D3D8400F 1800012F
	v_cvt_pk_bf16_f32 v16, v8, v9                              // 0000000051DC: D2680010 00021308
	v_cvt_pk_bf16_f32 v17, v10, v11                            // 0000000051E4: D2680011 0002170A
	v_cvt_pk_bf16_f32 v18, v12, v13                            // 0000000051EC: D2680012 00021B0C
	v_cvt_pk_bf16_f32 v19, v14, v15                            // 0000000051F4: D2680013 00021F0E
	s_nop 1                                                    // 0000000051FC: BF800001
	v_permlane16_swap_b32_e32 v16, v18                         // 000000005200: 7E20B312
	s_nop 1                                                    // 000000005204: BF800001
	v_permlane16_swap_b32_e32 v17, v19                         // 000000005208: 7E22B313
	s_nop 1                                                    // 00000000520C: BF800001
	buffer_store_dwordx4 v[16:19], v194, s[4:7], 0 offen       // 000000005210: E07C1000 800110C2
	v_add_u32_e32 v194, s62, v194                              // 000000005218: 6985843E

000000000000521c <label_0987>:
	s_waitcnt vmcnt(0) expcnt(0) lgkmcnt(0)                    // 00000000521C: BF8C0000
	s_endpgm                                                   // 000000005220: BF810000
